;; amdgpu-corpus repo=ROCm/rocFFT kind=compiled arch=gfx906 opt=O3
	.text
	.amdgcn_target "amdgcn-amd-amdhsa--gfx906"
	.amdhsa_code_object_version 6
	.protected	bluestein_single_fwd_len864_dim1_half_op_CI_CI ; -- Begin function bluestein_single_fwd_len864_dim1_half_op_CI_CI
	.globl	bluestein_single_fwd_len864_dim1_half_op_CI_CI
	.p2align	8
	.type	bluestein_single_fwd_len864_dim1_half_op_CI_CI,@function
bluestein_single_fwd_len864_dim1_half_op_CI_CI: ; @bluestein_single_fwd_len864_dim1_half_op_CI_CI
; %bb.0:
	s_load_dwordx4 s[12:15], s[4:5], 0x28
	v_mul_u32_u24_e32 v1, 0x4be, v0
	v_add_u32_sdwa v29, s6, v1 dst_sel:DWORD dst_unused:UNUSED_PAD src0_sel:DWORD src1_sel:WORD_1
	v_mov_b32_e32 v30, 0
	s_waitcnt lgkmcnt(0)
	v_cmp_gt_u64_e32 vcc, s[12:13], v[29:30]
	s_and_saveexec_b64 s[0:1], vcc
	s_cbranch_execz .LBB0_31
; %bb.1:
	s_load_dwordx4 s[8:11], s[4:5], 0x18
	s_load_dwordx2 s[12:13], s[4:5], 0x0
	v_mov_b32_e32 v2, 54
	v_mul_lo_u16_sdwa v1, v1, v2 dst_sel:DWORD dst_unused:UNUSED_PAD src0_sel:WORD_1 src1_sel:DWORD
	v_sub_u16_e32 v75, v0, v1
	s_waitcnt lgkmcnt(0)
	s_load_dwordx4 s[0:3], s[8:9], 0x0
	v_lshlrev_b32_e32 v60, 2, v75
	global_load_dword v77, v60, s[12:13]
	v_or_b32_e32 v72, 0x240, v75
	v_mov_b32_e32 v10, 0xfffffc58
	s_waitcnt lgkmcnt(0)
	v_mad_u64_u32 v[0:1], s[6:7], s2, v29, 0
	v_mad_u64_u32 v[2:3], s[6:7], s0, v75, 0
	s_mul_i32 s16, s1, 0xfffffdf6
	v_mov_b32_e32 v11, s13
	v_mad_u64_u32 v[4:5], s[2:3], s3, v29, v[1:2]
	s_load_dwordx2 s[6:7], s[4:5], 0x38
	v_mad_u64_u32 v[5:6], s[2:3], s1, v75, v[3:4]
	v_mov_b32_e32 v1, v4
	v_lshlrev_b64 v[0:1], 2, v[0:1]
	v_mov_b32_e32 v6, s15
	v_mov_b32_e32 v3, v5
	v_add_co_u32_e32 v5, vcc, s14, v0
	v_addc_co_u32_e32 v6, vcc, v6, v1, vcc
	v_lshlrev_b64 v[0:1], 2, v[2:3]
	s_mul_i32 s2, s1, 0x120
	v_add_co_u32_e32 v0, vcc, v5, v0
	v_addc_co_u32_e32 v1, vcc, v6, v1, vcc
	global_load_dword v7, v[0:1], off
	s_mul_hi_u32 s3, s0, 0x120
	s_add_i32 s3, s3, s2
	s_mul_i32 s2, s0, 0x120
	s_lshl_b64 s[2:3], s[2:3], 2
	v_mov_b32_e32 v8, s3
	v_add_co_u32_e32 v0, vcc, s2, v0
	v_addc_co_u32_e32 v1, vcc, v1, v8, vcc
	global_load_dword v9, v[0:1], off
	global_load_dword v76, v60, s[12:13] offset:1152
	v_mad_u64_u32 v[2:3], s[14:15], s0, v72, 0
	s_load_dwordx4 s[8:11], s[10:11], 0x0
	global_load_dword v74, v60, s[12:13] offset:2304
	global_load_dword v70, v60, s[12:13] offset:2520
	;; [unrolled: 1-line block ×4, first 2 shown]
	v_mad_u64_u32 v[3:4], s[14:15], s1, v72, v[3:4]
	s_mul_i32 s15, s1, 0xfffffc58
	s_mul_hi_u32 s1, s0, 0xfffffdf6
	v_lshlrev_b64 v[2:3], 2, v[2:3]
	s_mul_i32 s14, s0, 0xfffffdf6
	v_add_co_u32_e32 v2, vcc, v5, v2
	v_addc_co_u32_e32 v3, vcc, v6, v3, vcc
	s_sub_i32 s17, s15, s0
	s_sub_i32 s15, s1, s0
	v_mad_u64_u32 v[0:1], s[0:1], s0, v10, v[0:1]
	global_load_dword v73, v60, s[12:13] offset:216
	global_load_dword v69, v60, s[12:13] offset:432
	;; [unrolled: 1-line block ×3, first 2 shown]
	global_load_dword v4, v[2:3], off
	global_load_dword v63, v60, s[12:13] offset:864
	v_add_u32_e32 v1, s17, v1
	global_load_dword v3, v[0:1], off
	v_add_co_u32_e32 v27, vcc, s12, v60
	v_addc_co_u32_e32 v28, vcc, 0, v11, vcc
	v_add_co_u32_e32 v0, vcc, s2, v0
	v_addc_co_u32_e32 v1, vcc, v1, v8, vcc
	global_load_dword v5, v[0:1], off
	v_add_co_u32_e32 v0, vcc, s2, v0
	s_add_i32 s15, s15, s16
	v_addc_co_u32_e32 v1, vcc, v1, v8, vcc
	s_lshl_b64 s[14:15], s[14:15], 2
	global_load_dword v6, v[0:1], off
	v_mov_b32_e32 v2, s15
	v_add_co_u32_e32 v0, vcc, s14, v0
	v_addc_co_u32_e32 v1, vcc, v1, v2, vcc
	global_load_dword v10, v[0:1], off
	v_add_co_u32_e32 v0, vcc, s2, v0
	v_addc_co_u32_e32 v1, vcc, v1, v8, vcc
	v_cmp_gt_u16_e64 s[0:1], 18, v75
	s_waitcnt vmcnt(15)
	v_lshrrev_b32_e32 v11, 16, v7
	v_mul_f16_sdwa v12, v77, v7 dst_sel:DWORD dst_unused:UNUSED_PAD src0_sel:WORD_1 src1_sel:DWORD
	v_mul_f16_sdwa v13, v77, v11 dst_sel:DWORD dst_unused:UNUSED_PAD src0_sel:WORD_1 src1_sel:DWORD
	v_fma_f16 v11, v77, v11, -v12
	v_fma_f16 v7, v77, v7, v13
	v_pack_b32_f16 v7, v7, v11
	global_load_dword v11, v[0:1], off
	v_add_co_u32_e32 v0, vcc, s2, v0
	v_addc_co_u32_e32 v1, vcc, v1, v8, vcc
	s_waitcnt vmcnt(15)
	v_lshrrev_b32_e32 v12, 16, v9
	global_load_dword v14, v[0:1], off
	global_load_dword v67, v60, s[12:13] offset:2736
	s_waitcnt vmcnt(16)
	v_mul_f16_sdwa v13, v76, v12 dst_sel:DWORD dst_unused:UNUSED_PAD src0_sel:WORD_1 src1_sel:DWORD
	v_add_co_u32_e32 v0, vcc, s14, v0
	v_fma_f16 v13, v76, v9, v13
	v_mul_f16_sdwa v9, v76, v9 dst_sel:DWORD dst_unused:UNUSED_PAD src0_sel:WORD_1 src1_sel:DWORD
	v_addc_co_u32_e32 v1, vcc, v1, v2, vcc
	v_fma_f16 v9, v76, v12, -v9
	global_load_dword v12, v[0:1], off
	v_pack_b32_f16 v9, v13, v9
	v_add_co_u32_e32 v0, vcc, s2, v0
	ds_write_b32 v60, v9 offset:1152
	v_addc_co_u32_e32 v1, vcc, v1, v8, vcc
	global_load_dword v9, v[0:1], off
	global_load_dword v65, v60, s[12:13] offset:1800
	v_add_co_u32_e32 v0, vcc, s2, v0
	v_addc_co_u32_e32 v1, vcc, v1, v8, vcc
	global_load_dword v13, v[0:1], off
	global_load_dword v64, v60, s[12:13] offset:2952
	v_add_co_u32_e32 v0, vcc, s14, v0
	v_addc_co_u32_e32 v1, vcc, v1, v2, vcc
	global_load_dword v15, v[0:1], off
	v_add_co_u32_e32 v0, vcc, s2, v0
	v_addc_co_u32_e32 v1, vcc, v1, v8, vcc
	global_load_dword v16, v[0:1], off
	global_load_dword v61, v60, s[12:13] offset:3168
	global_load_dword v62, v60, s[12:13] offset:2016
	v_add_co_u32_e32 v0, vcc, s2, v0
	v_addc_co_u32_e32 v1, vcc, v1, v8, vcc
	global_load_dword v8, v[0:1], off
	s_waitcnt vmcnt(18)
	v_lshrrev_b32_e32 v2, 16, v4
	v_mul_f16_sdwa v17, v74, v2 dst_sel:DWORD dst_unused:UNUSED_PAD src0_sel:WORD_1 src1_sel:DWORD
	v_fma_f16 v17, v74, v4, v17
	v_mul_f16_sdwa v4, v74, v4 dst_sel:DWORD dst_unused:UNUSED_PAD src0_sel:WORD_1 src1_sel:DWORD
	v_fma_f16 v2, v74, v2, -v4
	v_pack_b32_f16 v2, v17, v2
	ds_write_b32 v60, v2 offset:2304
	s_waitcnt vmcnt(16)
	v_lshrrev_b32_e32 v2, 16, v3
	v_mul_f16_sdwa v4, v73, v2 dst_sel:DWORD dst_unused:UNUSED_PAD src0_sel:WORD_1 src1_sel:DWORD
	v_fma_f16 v4, v73, v3, v4
	v_mul_f16_sdwa v3, v73, v3 dst_sel:DWORD dst_unused:UNUSED_PAD src0_sel:WORD_1 src1_sel:DWORD
	v_fma_f16 v2, v73, v2, -v3
	v_pack_b32_f16 v2, v4, v2
	ds_write2_b32 v60, v7, v2 offset1:54
	s_waitcnt vmcnt(15)
	v_lshrrev_b32_e32 v2, 16, v5
	v_mul_f16_sdwa v3, v71, v2 dst_sel:DWORD dst_unused:UNUSED_PAD src0_sel:WORD_1 src1_sel:DWORD
	v_mul_f16_sdwa v4, v71, v5 dst_sel:DWORD dst_unused:UNUSED_PAD src0_sel:WORD_1 src1_sel:DWORD
	v_fma_f16 v3, v71, v5, v3
	v_fma_f16 v2, v71, v2, -v4
	v_pack_b32_f16 v2, v3, v2
	s_waitcnt vmcnt(14)
	v_lshrrev_b32_e32 v3, 16, v6
	v_mul_f16_sdwa v4, v70, v3 dst_sel:DWORD dst_unused:UNUSED_PAD src0_sel:WORD_1 src1_sel:DWORD
	v_mul_f16_sdwa v5, v70, v6 dst_sel:DWORD dst_unused:UNUSED_PAD src0_sel:WORD_1 src1_sel:DWORD
	v_fma_f16 v4, v70, v6, v4
	v_fma_f16 v3, v70, v3, -v5
	v_pack_b32_f16 v3, v4, v3
	;; [unrolled: 7-line block ×4, first 2 shown]
	v_add_u32_e32 v4, 0x400, v60
	ds_write2_b32 v4, v2, v6 offset0:86 offset1:140
	s_waitcnt vmcnt(11)
	v_lshrrev_b32_e32 v2, 16, v14
	s_waitcnt vmcnt(10)
	v_mul_f16_sdwa v6, v67, v2 dst_sel:DWORD dst_unused:UNUSED_PAD src0_sel:WORD_1 src1_sel:DWORD
	v_mul_f16_sdwa v7, v67, v14 dst_sel:DWORD dst_unused:UNUSED_PAD src0_sel:WORD_1 src1_sel:DWORD
	v_fma_f16 v6, v67, v14, v6
	v_fma_f16 v2, v67, v2, -v7
	v_pack_b32_f16 v6, v6, v2
	v_add_u32_e32 v2, 0x800, v60
	ds_write2_b32 v2, v3, v6 offset0:118 offset1:172
	s_waitcnt vmcnt(9)
	v_lshrrev_b32_e32 v3, 16, v12
	v_mul_f16_sdwa v6, v66, v3 dst_sel:DWORD dst_unused:UNUSED_PAD src0_sel:WORD_1 src1_sel:DWORD
	v_mul_f16_sdwa v7, v66, v12 dst_sel:DWORD dst_unused:UNUSED_PAD src0_sel:WORD_1 src1_sel:DWORD
	v_fma_f16 v6, v66, v12, v6
	v_fma_f16 v3, v66, v3, -v7
	v_pack_b32_f16 v3, v6, v3
	ds_write2_b32 v60, v5, v3 offset0:108 offset1:162
	s_waitcnt vmcnt(8)
	v_lshrrev_b32_e32 v3, 16, v9
	s_waitcnt vmcnt(7)
	v_mul_f16_sdwa v5, v65, v3 dst_sel:DWORD dst_unused:UNUSED_PAD src0_sel:WORD_1 src1_sel:DWORD
	v_mul_f16_sdwa v6, v65, v9 dst_sel:DWORD dst_unused:UNUSED_PAD src0_sel:WORD_1 src1_sel:DWORD
	v_fma_f16 v5, v65, v9, v5
	v_fma_f16 v3, v65, v3, -v6
	v_pack_b32_f16 v3, v5, v3
	s_waitcnt vmcnt(6)
	v_lshrrev_b32_e32 v5, 16, v13
	s_waitcnt vmcnt(5)
	v_mul_f16_sdwa v6, v64, v5 dst_sel:DWORD dst_unused:UNUSED_PAD src0_sel:WORD_1 src1_sel:DWORD
	v_mul_f16_sdwa v7, v64, v13 dst_sel:DWORD dst_unused:UNUSED_PAD src0_sel:WORD_1 src1_sel:DWORD
	v_fma_f16 v6, v64, v13, v6
	v_fma_f16 v5, v64, v5, -v7
	v_pack_b32_f16 v5, v6, v5
	s_waitcnt vmcnt(4)
	v_lshrrev_b32_e32 v6, 16, v15
	v_mul_f16_sdwa v7, v63, v6 dst_sel:DWORD dst_unused:UNUSED_PAD src0_sel:WORD_1 src1_sel:DWORD
	v_mul_f16_sdwa v9, v63, v15 dst_sel:DWORD dst_unused:UNUSED_PAD src0_sel:WORD_1 src1_sel:DWORD
	v_fma_f16 v7, v63, v15, v7
	v_fma_f16 v6, v63, v6, -v9
	v_pack_b32_f16 v6, v7, v6
	ds_write_b32 v60, v6 offset:864
	s_waitcnt vmcnt(3)
	v_lshrrev_b32_e32 v6, 16, v16
	s_waitcnt vmcnt(1)
	v_mul_f16_sdwa v7, v62, v6 dst_sel:DWORD dst_unused:UNUSED_PAD src0_sel:WORD_1 src1_sel:DWORD
	v_mul_f16_sdwa v9, v62, v16 dst_sel:DWORD dst_unused:UNUSED_PAD src0_sel:WORD_1 src1_sel:DWORD
	v_fma_f16 v7, v62, v16, v7
	v_fma_f16 v6, v62, v6, -v9
	v_pack_b32_f16 v6, v7, v6
	ds_write2_b32 v4, v3, v6 offset0:194 offset1:248
	s_waitcnt vmcnt(0)
	v_lshrrev_b32_e32 v3, 16, v8
	v_mul_f16_sdwa v6, v61, v3 dst_sel:DWORD dst_unused:UNUSED_PAD src0_sel:WORD_1 src1_sel:DWORD
	v_mul_f16_sdwa v7, v61, v8 dst_sel:DWORD dst_unused:UNUSED_PAD src0_sel:WORD_1 src1_sel:DWORD
	v_fma_f16 v6, v61, v8, v6
	v_fma_f16 v3, v61, v3, -v7
	v_pack_b32_f16 v3, v6, v3
	v_add_u32_e32 v6, 0xa00, v60
	ds_write2_b32 v6, v5, v3 offset0:98 offset1:152
	s_and_saveexec_b64 s[16:17], s[0:1]
	s_cbranch_execz .LBB0_3
; %bb.2:
	v_mov_b32_e32 v3, s15
	v_add_co_u32_e32 v0, vcc, s14, v0
	v_addc_co_u32_e32 v1, vcc, v1, v3, vcc
	global_load_dword v3, v[0:1], off
	global_load_dword v5, v[27:28], off offset:1080
	v_mov_b32_e32 v6, s3
	v_add_co_u32_e32 v0, vcc, s2, v0
	v_addc_co_u32_e32 v1, vcc, v1, v6, vcc
	global_load_dword v7, v[0:1], off
	global_load_dword v8, v[27:28], off offset:2232
	v_add_co_u32_e32 v0, vcc, s2, v0
	v_addc_co_u32_e32 v1, vcc, v1, v6, vcc
	global_load_dword v6, v[0:1], off
	global_load_dword v9, v[27:28], off offset:3384
	s_waitcnt vmcnt(5)
	v_lshrrev_b32_e32 v0, 16, v3
	s_waitcnt vmcnt(4)
	v_mul_f16_sdwa v1, v5, v3 dst_sel:DWORD dst_unused:UNUSED_PAD src0_sel:WORD_1 src1_sel:DWORD
	v_mul_f16_sdwa v10, v5, v0 dst_sel:DWORD dst_unused:UNUSED_PAD src0_sel:WORD_1 src1_sel:DWORD
	v_fma_f16 v0, v5, v0, -v1
	v_fma_f16 v3, v5, v3, v10
	v_pack_b32_f16 v0, v3, v0
	s_waitcnt vmcnt(3)
	v_lshrrev_b32_e32 v1, 16, v7
	s_waitcnt vmcnt(2)
	v_mul_f16_sdwa v11, v8, v7 dst_sel:DWORD dst_unused:UNUSED_PAD src0_sel:WORD_1 src1_sel:DWORD
	v_mul_f16_sdwa v5, v8, v1 dst_sel:DWORD dst_unused:UNUSED_PAD src0_sel:WORD_1 src1_sel:DWORD
	v_fma_f16 v1, v8, v1, -v11
	v_fma_f16 v3, v8, v7, v5
	s_waitcnt vmcnt(1)
	v_lshrrev_b32_e32 v10, 16, v6
	s_waitcnt vmcnt(0)
	v_mul_f16_sdwa v11, v9, v6 dst_sel:DWORD dst_unused:UNUSED_PAD src0_sel:WORD_1 src1_sel:DWORD
	v_mul_f16_sdwa v5, v9, v10 dst_sel:DWORD dst_unused:UNUSED_PAD src0_sel:WORD_1 src1_sel:DWORD
	v_fma_f16 v7, v9, v10, -v11
	ds_write_b32 v60, v0 offset:1080
	v_pack_b32_f16 v0, v3, v1
	v_fma_f16 v1, v9, v6, v5
	ds_write_b32 v60, v0 offset:2232
	v_pack_b32_f16 v0, v1, v7
	ds_write_b32 v60, v0 offset:3384
.LBB0_3:
	s_or_b64 exec, exec, s[16:17]
	v_add_u32_e32 v0, 0x200, v60
	s_waitcnt lgkmcnt(0)
	; wave barrier
	s_waitcnt lgkmcnt(0)
	ds_read2_b32 v[8:9], v60 offset1:54
	ds_read2_b32 v[13:14], v0 offset0:88 offset1:160
	ds_read2_b32 v[10:11], v2 offset0:64 offset1:118
	;; [unrolled: 1-line block ×6, first 2 shown]
	ds_read_b32 v16, v60 offset:3168
                                        ; implicit-def: $vgpr15
                                        ; implicit-def: $vgpr18
                                        ; implicit-def: $vgpr19
	s_and_saveexec_b64 s[2:3], s[0:1]
	s_cbranch_execz .LBB0_5
; %bb.4:
	ds_read_b32 v19, v60 offset:1080
	ds_read_b32 v18, v60 offset:2232
	ds_read_b32 v15, v60 offset:3384
.LBB0_5:
	s_or_b64 exec, exec, s[2:3]
	s_movk_i32 s2, 0xa2
	v_add_co_u32_e32 v50, vcc, s2, v75
	s_movk_i32 s2, 0xd8
	v_add_co_u32_e32 v34, vcc, 54, v75
	v_add_co_u32_e32 v51, vcc, 0x6c, v75
	;; [unrolled: 1-line block ×3, first 2 shown]
	s_movk_i32 s2, 0x10e
	v_add_co_u32_e32 v48, vcc, s2, v75
	v_addc_co_u32_e64 v49, s[2:3], 0, 0, vcc
	s_waitcnt lgkmcnt(1)
	v_pk_add_f16 v12, v13, v5
	s_waitcnt lgkmcnt(0)
	v_pk_add_f16 v17, v5, v16
	v_pk_add_f16 v5, v5, v16 neg_lo:[0,1] neg_hi:[0,1]
	s_movk_i32 s2, 0x3aee
	v_pk_fma_f16 v17, v17, 0.5, v13 op_sel_hi:[1,0,1] neg_lo:[1,0,0] neg_hi:[1,0,0]
	v_pk_mul_f16 v5, v5, s2 op_sel_hi:[1,0]
	v_pk_add_f16 v12, v12, v16
	v_pk_add_f16 v13, v17, v5 op_sel:[0,1] op_sel_hi:[1,0]
	v_pk_add_f16 v16, v17, v5 op_sel:[0,1] op_sel_hi:[1,0] neg_lo:[0,1] neg_hi:[0,1]
	v_pk_add_f16 v5, v18, v19
	v_pk_add_f16 v17, v15, v5
	;; [unrolled: 1-line block ×3, first 2 shown]
	v_pk_fma_f16 v5, v5, 0.5, v19 op_sel_hi:[1,0,1] neg_lo:[1,0,0] neg_hi:[1,0,0]
	v_pk_add_f16 v15, v18, v15 neg_lo:[0,1] neg_hi:[0,1]
	v_pk_add_f16 v20, v8, v14
	v_pk_fma_f16 v26, v15, s2, v5 op_sel:[0,0,1] op_sel_hi:[1,0,0]
	v_pk_fma_f16 v19, v15, s2, v5 op_sel:[0,0,1] op_sel_hi:[1,0,0] neg_lo:[1,0,0] neg_hi:[1,0,0]
	v_mul_lo_u16_e32 v5, 3, v75
	v_lshlrev_b32_e32 v79, 2, v5
	v_pk_add_f16 v5, v20, v10
	v_pk_add_f16 v15, v14, v10
	v_pk_add_f16 v10, v14, v10 neg_lo:[0,1] neg_hi:[0,1]
	v_pk_fma_f16 v8, v15, 0.5, v8 op_sel_hi:[1,0,1] neg_lo:[1,0,0] neg_hi:[1,0,0]
	v_pk_mul_f16 v10, v10, s2 op_sel_hi:[1,0]
	v_pk_add_f16 v14, v8, v10 op_sel:[0,1] op_sel_hi:[1,0]
	v_pk_add_f16 v8, v8, v10 op_sel:[0,1] op_sel_hi:[1,0] neg_lo:[0,1] neg_hi:[0,1]
	s_mov_b32 s3, 0xffff
	v_bfi_b32 v10, s3, v14, v8
	v_pk_add_f16 v21, v9, v6
	s_waitcnt lgkmcnt(0)
	; wave barrier
	ds_write2_b32 v79, v5, v10 offset1:1
	v_bfi_b32 v5, s3, v8, v14
	v_pk_add_f16 v8, v6, v11
	v_pk_add_f16 v6, v6, v11 neg_lo:[0,1] neg_hi:[0,1]
	v_pk_fma_f16 v8, v8, 0.5, v9 op_sel_hi:[1,0,1] neg_lo:[1,0,0] neg_hi:[1,0,0]
	v_pk_mul_f16 v6, v6, s2 op_sel_hi:[1,0]
	ds_write_b32 v79, v5 offset:8
	v_mul_u32_u24_e32 v5, 3, v34
	v_pk_add_f16 v9, v8, v6 op_sel:[0,1] op_sel_hi:[1,0]
	v_pk_add_f16 v6, v8, v6 op_sel:[0,1] op_sel_hi:[1,0] neg_lo:[0,1] neg_hi:[0,1]
	v_lshlrev_b32_e32 v80, 2, v5
	v_pk_add_f16 v5, v21, v11
	v_bfi_b32 v8, s3, v9, v6
	ds_write2_b32 v80, v5, v8 offset1:1
	v_bfi_b32 v5, s3, v6, v9
	v_pk_add_f16 v22, v0, v7
	ds_write_b32 v80, v5 offset:8
	v_mul_u32_u24_e32 v5, 3, v51
	v_lshlrev_b32_e32 v81, 2, v5
	v_pk_add_f16 v5, v22, v2
	v_pk_add_f16 v6, v7, v2
	v_pk_add_f16 v2, v7, v2 neg_lo:[0,1] neg_hi:[0,1]
	v_pk_fma_f16 v0, v6, 0.5, v0 op_sel_hi:[1,0,1] neg_lo:[1,0,0] neg_hi:[1,0,0]
	v_pk_mul_f16 v2, v2, s2 op_sel_hi:[1,0]
	v_pk_add_f16 v6, v0, v2 op_sel:[0,1] op_sel_hi:[1,0]
	v_pk_add_f16 v0, v0, v2 op_sel:[0,1] op_sel_hi:[1,0] neg_lo:[0,1] neg_hi:[0,1]
	v_bfi_b32 v2, s3, v6, v0
	ds_write2_b32 v81, v5, v2 offset1:1
	v_pk_add_f16 v2, v4, v3
	v_pk_add_f16 v23, v1, v4
	v_bfi_b32 v0, s3, v0, v6
	v_pk_fma_f16 v1, v2, 0.5, v1 op_sel_hi:[1,0,1] neg_lo:[1,0,0] neg_hi:[1,0,0]
	v_pk_add_f16 v2, v4, v3 neg_lo:[0,1] neg_hi:[0,1]
	ds_write_b32 v81, v0 offset:8
	v_mul_u32_u24_e32 v0, 3, v50
	v_pk_mul_f16 v2, v2, s2 op_sel_hi:[1,0]
	s_load_dwordx2 s[4:5], s[4:5], 0x8
	v_lshlrev_b32_e32 v82, 2, v0
	v_pk_add_f16 v0, v23, v3
	v_pk_add_f16 v3, v1, v2 op_sel:[0,1] op_sel_hi:[1,0]
	v_pk_add_f16 v1, v1, v2 op_sel:[0,1] op_sel_hi:[1,0] neg_lo:[0,1] neg_hi:[0,1]
	v_bfi_b32 v2, s3, v3, v1
	ds_write2_b32 v82, v0, v2 offset1:1
	v_bfi_b32 v0, s3, v1, v3
	ds_write_b32 v82, v0 offset:8
	v_mul_u32_u24_e32 v0, 3, v41
	v_lshrrev_b32_e32 v18, 16, v26
	v_lshlrev_b32_e32 v84, 2, v0
	v_bfi_b32 v0, s3, v16, v13
	v_bfi_b32 v1, s3, v13, v16
	v_mul_u32_u24_e32 v83, 3, v48
	ds_write_b32 v84, v12
	ds_write2_b32 v84, v1, v0 offset0:1 offset1:2
	s_and_saveexec_b64 s[2:3], s[0:1]
	s_cbranch_execz .LBB0_7
; %bb.6:
	s_mov_b32 s14, 0x5040100
	v_lshlrev_b32_e32 v0, 2, v83
	v_perm_b32 v1, v19, v18, s14
	v_alignbit_b32 v2, v26, v19, 16
	ds_write_b32 v0, v17
	ds_write2_b32 v0, v1, v2 offset0:1 offset1:2
.LBB0_7:
	s_or_b64 exec, exec, s[2:3]
	v_add_u32_e32 v0, 0x400, v60
	s_waitcnt lgkmcnt(0)
	; wave barrier
	s_waitcnt lgkmcnt(0)
	ds_read2_b32 v[14:15], v60 offset1:54
	ds_read2_b32 v[20:21], v60 offset0:144 offset1:198
	ds_read2_b32 v[22:23], v0 offset0:32 offset1:86
	;; [unrolled: 1-line block ×3, first 2 shown]
	v_add_u32_e32 v0, 0x800, v60
	ds_read2_b32 v[30:31], v0 offset0:64 offset1:118
	v_add_u32_e32 v0, 0xa00, v60
	ds_read2_b32 v[32:33], v0 offset0:80 offset1:134
	v_lshrrev_b32_e32 v35, 16, v13
	v_cmp_gt_u16_e32 vcc, 36, v75
	s_and_saveexec_b64 s[2:3], vcc
	s_cbranch_execz .LBB0_9
; %bb.8:
	ds_read2_b32 v[18:19], v0 offset0:44 offset1:188
	v_add_u32_e32 v0, 0x600, v60
	ds_read2_b32 v[16:17], v0 offset0:12 offset1:156
	ds_read2_b32 v[12:13], v60 offset0:108 offset1:252
	s_mov_b32 s14, 0xffff
	s_waitcnt lgkmcnt(2)
	v_lshrrev_b32_e32 v26, 16, v19
	v_alignbit_b32 v19, v19, v18, 16
	s_waitcnt lgkmcnt(1)
	v_lshrrev_b32_e32 v35, 16, v16
	s_waitcnt lgkmcnt(0)
	v_bfi_b32 v16, s14, v16, v13
.LBB0_9:
	s_or_b64 exec, exec, s[2:3]
	s_movk_i32 s14, 0xab
	v_mul_lo_u16_sdwa v0, v75, s14 dst_sel:DWORD dst_unused:UNUSED_PAD src0_sel:BYTE_0 src1_sel:DWORD
	v_lshrrev_b16_e32 v40, 9, v0
	v_mul_lo_u16_sdwa v6, v34, s14 dst_sel:DWORD dst_unused:UNUSED_PAD src0_sel:BYTE_0 src1_sel:DWORD
	v_mul_lo_u16_e32 v0, 3, v40
	v_lshrrev_b16_e32 v43, 9, v6
	v_mul_lo_u16_sdwa v8, v51, s14 dst_sel:DWORD dst_unused:UNUSED_PAD src0_sel:BYTE_0 src1_sel:DWORD
	v_sub_u16_e32 v0, v75, v0
	v_mul_lo_u16_e32 v6, 3, v43
	v_lshrrev_b16_e32 v45, 9, v8
	v_and_b32_e32 v42, 0xff, v0
	v_sub_u16_e32 v6, v34, v6
	v_mul_lo_u16_e32 v8, 3, v45
	v_mad_u64_u32 v[4:5], s[2:3], v42, 20, s[4:5]
	v_and_b32_e32 v44, 0xff, v6
	v_sub_u16_e32 v8, v51, v8
	v_mad_u64_u32 v[36:37], s[2:3], v44, 20, s[4:5]
	v_and_b32_e32 v78, 0xff, v8
	v_mad_u64_u32 v[38:39], s[2:3], v78, 20, s[4:5]
	global_load_dwordx4 v[0:3], v[4:5], off
	global_load_dword v85, v[4:5], off offset:16
	v_lshrrev_b32_e32 v58, 16, v19
	global_load_dwordx4 v[4:7], v[36:37], off
	global_load_dword v87, v[36:37], off offset:16
	global_load_dwordx4 v[8:11], v[38:39], off
	global_load_dword v86, v[38:39], off offset:16
	s_waitcnt lgkmcnt(3)
	v_lshrrev_b32_e32 v37, 16, v22
	s_waitcnt lgkmcnt(1)
	v_lshrrev_b32_e32 v39, 16, v30
	v_lshrrev_b32_e32 v36, 16, v20
	;; [unrolled: 1-line block ×5, first 2 shown]
	s_waitcnt lgkmcnt(0)
	v_lshrrev_b32_e32 v46, 16, v32
	v_lshrrev_b32_e32 v57, 16, v14
	s_movk_i32 s2, 0x3aee
	s_mov_b32 s3, 0xbaee
	v_lshrrev_b32_e32 v52, 16, v23
	v_lshrrev_b32_e32 v54, 16, v31
	;; [unrolled: 1-line block ×4, first 2 shown]
	s_waitcnt lgkmcnt(0)
	; wave barrier
	s_waitcnt vmcnt(5)
	v_mul_f16_sdwa v89, v37, v1 dst_sel:DWORD dst_unused:UNUSED_PAD src0_sel:DWORD src1_sel:WORD_1
	v_mul_f16_sdwa v93, v39, v3 dst_sel:DWORD dst_unused:UNUSED_PAD src0_sel:DWORD src1_sel:WORD_1
	;; [unrolled: 1-line block ×4, first 2 shown]
	s_waitcnt vmcnt(0)
	v_mul_f16_sdwa v112, v58, v86 dst_sel:DWORD dst_unused:UNUSED_PAD src0_sel:DWORD src1_sel:WORD_1
	v_fma_f16 v89, v22, v1, -v89
	v_fma_f16 v30, v30, v3, -v93
	v_mul_f16_sdwa v59, v36, v0 dst_sel:DWORD dst_unused:UNUSED_PAD src0_sel:DWORD src1_sel:WORD_1
	v_mul_f16_sdwa v108, v17, v10 dst_sel:DWORD dst_unused:UNUSED_PAD src0_sel:DWORD src1_sel:WORD_1
	;; [unrolled: 1-line block ×3, first 2 shown]
	v_fma_f16 v37, v37, v1, v90
	v_fma_f16 v39, v39, v3, v94
	;; [unrolled: 1-line block ×3, first 2 shown]
	v_add_f16_e32 v26, v89, v30
	v_mul_f16_sdwa v88, v20, v0 dst_sel:DWORD dst_unused:UNUSED_PAD src0_sel:DWORD src1_sel:WORD_1
	v_mul_f16_sdwa v97, v47, v4 dst_sel:DWORD dst_unused:UNUSED_PAD src0_sel:DWORD src1_sel:WORD_1
	;; [unrolled: 1-line block ×4, first 2 shown]
	v_fma_f16 v59, v20, v0, -v59
	v_fma_f16 v20, v56, v10, v108
	v_fma_f16 v26, v26, -0.5, v14
	v_sub_f16_e32 v56, v37, v39
	v_mul_f16_sdwa v91, v38, v2 dst_sel:DWORD dst_unused:UNUSED_PAD src0_sel:DWORD src1_sel:WORD_1
	v_mul_f16_sdwa v95, v46, v85 dst_sel:DWORD dst_unused:UNUSED_PAD src0_sel:DWORD src1_sel:WORD_1
	;; [unrolled: 1-line block ×4, first 2 shown]
	v_fma_f16 v97, v21, v4, -v97
	v_fma_f16 v21, v19, v11, v110
	v_fma_f16 v19, v58, v86, -v111
	v_fma_f16 v58, v56, s2, v26
	v_fma_f16 v26, v56, s3, v26
	v_add_f16_e32 v56, v57, v37
	v_add_f16_e32 v37, v37, v39
	;; [unrolled: 1-line block ×3, first 2 shown]
	v_mul_f16_sdwa v92, v24, v2 dst_sel:DWORD dst_unused:UNUSED_PAD src0_sel:DWORD src1_sel:WORD_1
	v_mul_f16_sdwa v96, v32, v85 dst_sel:DWORD dst_unused:UNUSED_PAD src0_sel:DWORD src1_sel:WORD_1
	v_fma_f16 v24, v24, v2, -v91
	v_fma_f16 v32, v32, v85, -v95
	v_add_f16_e32 v14, v14, v30
	v_fma_f16 v37, v37, -0.5, v57
	v_sub_f16_e32 v30, v89, v30
	v_fma_f16 v38, v38, v2, v92
	v_fma_f16 v46, v46, v85, v96
	v_add_f16_e32 v56, v56, v39
	v_fma_f16 v39, v30, s3, v37
	v_fma_f16 v30, v30, s2, v37
	v_add_f16_e32 v37, v24, v32
	v_fma_f16 v36, v36, v0, v88
	v_fma_f16 v37, v37, -0.5, v59
	v_sub_f16_e32 v57, v38, v46
	v_fma_f16 v88, v57, s2, v37
	v_fma_f16 v37, v57, s3, v37
	v_add_f16_e32 v57, v36, v38
	v_add_f16_e32 v38, v38, v46
	;; [unrolled: 1-line block ×3, first 2 shown]
	v_fma_f16 v36, v38, -0.5, v36
	v_add_f16_e32 v46, v59, v24
	v_sub_f16_e32 v24, v24, v32
	v_add_f16_e32 v46, v46, v32
	v_fma_f16 v32, v24, s3, v36
	v_mul_f16_e32 v59, 0xbaee, v88
	v_mul_f16_sdwa v99, v52, v5 dst_sel:DWORD dst_unused:UNUSED_PAD src0_sel:DWORD src1_sel:WORD_1
	v_mul_f16_sdwa v103, v54, v7 dst_sel:DWORD dst_unused:UNUSED_PAD src0_sel:DWORD src1_sel:WORD_1
	v_fma_f16 v24, v24, s2, v36
	v_mul_f16_e32 v36, 0x3aee, v32
	v_fma_f16 v32, v32, 0.5, v59
	v_mul_f16_e32 v59, -0.5, v37
	v_mul_f16_sdwa v100, v23, v5 dst_sel:DWORD dst_unused:UNUSED_PAD src0_sel:DWORD src1_sel:WORD_1
	v_mul_f16_sdwa v104, v31, v7 dst_sel:DWORD dst_unused:UNUSED_PAD src0_sel:DWORD src1_sel:WORD_1
	v_fma_f16 v23, v23, v5, -v99
	v_fma_f16 v31, v31, v7, -v103
	v_fma_f16 v59, v24, s2, v59
	v_mul_f16_e32 v24, -0.5, v24
	v_fma_f16 v52, v52, v5, v100
	v_fma_f16 v54, v54, v7, v104
	v_fma_f16 v36, v88, 0.5, v36
	v_fma_f16 v24, v37, s3, v24
	v_add_f16_e32 v37, v14, v46
	v_sub_f16_e32 v46, v14, v46
	v_add_f16_e32 v14, v23, v31
	v_lshrrev_b32_e32 v38, 16, v15
	v_add_f16_e32 v89, v58, v36
	v_sub_f16_e32 v36, v58, v36
	v_add_f16_e32 v58, v26, v59
	v_sub_f16_e32 v59, v26, v59
	;; [unrolled: 2-line block ×5, first 2 shown]
	v_fma_f16 v14, v14, -0.5, v15
	v_sub_f16_e32 v24, v52, v54
	v_fma_f16 v30, v24, s2, v14
	v_fma_f16 v24, v24, s3, v14
	v_add_f16_e32 v14, v38, v52
	v_mul_f16_sdwa v101, v53, v6 dst_sel:DWORD dst_unused:UNUSED_PAD src0_sel:DWORD src1_sel:WORD_1
	v_mul_f16_sdwa v105, v55, v87 dst_sel:DWORD dst_unused:UNUSED_PAD src0_sel:DWORD src1_sel:WORD_1
	v_add_f16_e32 v15, v15, v23
	v_add_f16_e32 v88, v14, v54
	;; [unrolled: 1-line block ×3, first 2 shown]
	v_mul_f16_sdwa v102, v25, v6 dst_sel:DWORD dst_unused:UNUSED_PAD src0_sel:DWORD src1_sel:WORD_1
	v_mul_f16_sdwa v106, v33, v87 dst_sel:DWORD dst_unused:UNUSED_PAD src0_sel:DWORD src1_sel:WORD_1
	v_fma_f16 v25, v25, v6, -v101
	v_fma_f16 v33, v33, v87, -v105
	v_add_f16_e32 v52, v15, v31
	v_fma_f16 v14, v14, -0.5, v38
	v_sub_f16_e32 v15, v23, v31
	v_fma_f16 v53, v53, v6, v102
	v_fma_f16 v55, v55, v87, v106
	;; [unrolled: 1-line block ×4, first 2 shown]
	v_add_f16_e32 v14, v25, v33
	v_fma_f16 v47, v47, v4, v98
	v_fma_f16 v14, v14, -0.5, v97
	v_sub_f16_e32 v15, v53, v55
	v_fma_f16 v38, v15, s2, v14
	v_fma_f16 v54, v15, s3, v14
	v_add_f16_e32 v14, v47, v53
	v_add_f16_e32 v91, v14, v55
	;; [unrolled: 1-line block ×3, first 2 shown]
	v_fma_f16 v47, v14, -0.5, v47
	v_mul_f16_sdwa v14, v16, v9 dst_sel:DWORD dst_unused:UNUSED_PAD src0_sel:DWORD src1_sel:WORD_1
	v_fma_f16 v15, v35, v9, v14
	v_mul_f16_sdwa v14, v35, v9 dst_sel:DWORD dst_unused:UNUSED_PAD src0_sel:DWORD src1_sel:WORD_1
	v_add_f16_e32 v35, v97, v25
	v_sub_f16_e32 v25, v25, v33
	v_add_f16_e32 v35, v35, v33
	v_fma_f16 v33, v25, s3, v47
	v_fma_f16 v25, v25, s2, v47
	v_mul_f16_e32 v47, 0x3aee, v33
	v_fma_f16 v47, v38, 0.5, v47
	v_mul_f16_e32 v38, 0xbaee, v38
	v_fma_f16 v33, v33, 0.5, v38
	v_mul_f16_e32 v38, -0.5, v54
	v_fma_f16 v18, v18, v11, -v109
	v_fma_f16 v14, v16, v9, -v14
	v_fma_f16 v38, v25, s2, v38
	v_mul_f16_e32 v25, -0.5, v25
	v_fma_f16 v25, v54, s3, v25
	v_add_f16_e32 v94, v23, v33
	v_sub_f16_e32 v95, v23, v33
	v_add_f16_e32 v23, v14, v18
	v_add_f16_e32 v92, v24, v38
	v_sub_f16_e32 v38, v24, v38
	v_add_f16_e32 v96, v31, v25
	v_sub_f16_e32 v97, v31, v25
	v_fma_f16 v24, v23, -0.5, v12
	v_sub_f16_e32 v25, v15, v21
	v_fma_f16 v23, v25, s2, v24
	v_fma_f16 v24, v25, s3, v24
	v_mul_u32_u24_e32 v25, 18, v40
	v_add_f16_e32 v54, v30, v47
	v_sub_f16_e32 v47, v30, v47
	v_add_f16_e32 v93, v88, v91
	v_sub_f16_e32 v91, v88, v91
	v_add_lshl_u32 v88, v25, v42, 2
	v_lshrrev_b32_e32 v31, 16, v16
	v_pack_b32_f16 v16, v37, v26
	v_add_f16_e32 v25, v15, v21
	v_pack_b32_f16 v30, v89, v57
	v_lshrrev_b32_e32 v26, 16, v12
	v_fma_f16 v25, v25, -0.5, v26
	ds_write2_b32 v88, v16, v30 offset1:3
	v_sub_f16_e32 v30, v14, v18
	v_fma_f16 v16, v30, s3, v25
	v_fma_f16 v25, v30, s2, v25
	v_mul_f16_sdwa v30, v13, v8 dst_sel:DWORD dst_unused:UNUSED_PAD src0_sel:DWORD src1_sel:WORD_1
	v_fma_f16 v17, v17, v10, -v107
	v_fma_f16 v30, v31, v8, v30
	v_mul_f16_sdwa v31, v31, v8 dst_sel:DWORD dst_unused:UNUSED_PAD src0_sel:DWORD src1_sel:WORD_1
	v_fma_f16 v13, v13, v8, -v31
	v_add_f16_e32 v31, v17, v19
	v_fma_f16 v31, v31, -0.5, v13
	v_sub_f16_e32 v33, v20, v22
	v_add_f16_e32 v53, v52, v35
	v_sub_f16_e32 v52, v52, v35
	v_fma_f16 v35, v33, s2, v31
	v_fma_f16 v37, v33, s3, v31
	v_pack_b32_f16 v31, v58, v32
	v_pack_b32_f16 v32, v46, v56
	ds_write2_b32 v88, v31, v32 offset0:6 offset1:9
	v_add_f16_e32 v31, v20, v22
	v_fma_f16 v31, v31, -0.5, v30
	v_sub_f16_e32 v32, v17, v19
	v_fma_f16 v33, v32, s3, v31
	v_fma_f16 v40, v32, s2, v31
	v_mul_f16_e32 v31, 0x3aee, v33
	v_fma_f16 v31, v35, 0.5, v31
	v_mul_f16_e32 v32, 0xbaee, v35
	v_mul_f16_e32 v35, -0.5, v40
	v_fma_f16 v33, v33, 0.5, v32
	v_mul_f16_e32 v32, -0.5, v37
	v_fma_f16 v35, v37, s3, v35
	v_pack_b32_f16 v36, v36, v39
	v_pack_b32_f16 v37, v59, v90
	ds_write2_b32 v88, v36, v37 offset0:12 offset1:15
	v_mul_u32_u24_e32 v36, 18, v43
	v_add_lshl_u32 v90, v36, v44, 2
	v_pack_b32_f16 v36, v53, v93
	v_pack_b32_f16 v37, v54, v94
	v_fma_f16 v32, v40, s2, v32
	ds_write2_b32 v90, v36, v37 offset1:3
	v_pack_b32_f16 v36, v92, v96
	v_pack_b32_f16 v37, v52, v91
	v_sub_f16_e32 v55, v23, v31
	v_sub_f16_e32 v56, v24, v32
	;; [unrolled: 1-line block ×4, first 2 shown]
	ds_write2_b32 v90, v36, v37 offset0:6 offset1:9
	v_pack_b32_f16 v36, v47, v95
	v_pack_b32_f16 v37, v38, v97
	v_mul_u32_u24_e32 v89, 18, v45
	ds_write2_b32 v90, v36, v37 offset0:12 offset1:15
	s_and_saveexec_b64 s[2:3], vcc
	s_cbranch_execz .LBB0_11
; %bb.10:
	v_add_f16_e32 v15, v26, v15
	v_add_f16_e32 v20, v30, v20
	v_add_f16_e32 v12, v12, v14
	v_add_f16_e32 v13, v13, v17
	v_add_f16_e32 v15, v15, v21
	v_add_f16_e32 v20, v20, v22
	v_add_f16_e32 v12, v12, v18
	v_add_f16_e32 v13, v13, v19
	v_sub_f16_e32 v21, v15, v20
	v_sub_f16_e32 v14, v12, v13
	v_add_f16_e32 v16, v16, v33
	v_add_f16_e32 v15, v15, v20
	;; [unrolled: 1-line block ×6, first 2 shown]
	v_add_lshl_u32 v13, v89, v78, 2
	v_pack_b32_f16 v12, v12, v15
	v_pack_b32_f16 v15, v19, v16
	ds_write2_b32 v13, v12, v15 offset1:3
	v_pack_b32_f16 v12, v18, v17
	v_pack_b32_f16 v14, v14, v21
	s_mov_b32 s14, 0x5040100
	ds_write2_b32 v13, v12, v14 offset0:6 offset1:9
	v_perm_b32 v12, v58, v55, s14
	v_perm_b32 v14, v57, v56, s14
	ds_write2_b32 v13, v12, v14 offset0:12 offset1:15
.LBB0_11:
	s_or_b64 exec, exec, s[2:3]
	v_mov_b32_e32 v12, 57
	v_mul_lo_u16_sdwa v12, v75, v12 dst_sel:DWORD dst_unused:UNUSED_PAD src0_sel:BYTE_0 src1_sel:DWORD
	v_lshrrev_b16_e32 v98, 10, v12
	v_mul_lo_u16_e32 v12, 18, v98
	v_sub_u16_e32 v12, v75, v12
	v_and_b32_e32 v99, 0xff, v12
	v_mad_u64_u32 v[37:38], s[2:3], v99, 60, s[4:5]
	s_waitcnt lgkmcnt(0)
	; wave barrier
	s_waitcnt lgkmcnt(0)
	global_load_dwordx4 v[12:15], v[37:38], off offset:60
	ds_read2_b32 v[30:31], v60 offset1:54
	ds_read2_b32 v[16:17], v60 offset0:108 offset1:162
	v_add_u32_e32 v43, 0x200, v60
	ds_read2_b32 v[19:20], v43 offset0:88 offset1:142
	v_add_u32_e32 v52, 0x400, v60
	s_waitcnt lgkmcnt(2)
	v_lshrrev_b32_e32 v18, 16, v31
	s_waitcnt lgkmcnt(1)
	v_lshrrev_b32_e32 v40, 16, v16
	v_lshrrev_b32_e32 v42, 16, v17
	s_waitcnt lgkmcnt(0)
	v_lshrrev_b32_e32 v44, 16, v19
	ds_read2_b32 v[21:22], v52 offset0:68 offset1:122
	v_lshrrev_b32_e32 v45, 16, v20
	ds_read2_b32 v[23:24], v52 offset0:176 offset1:230
	v_add_u32_e32 v54, 0x800, v60
	ds_read2_b32 v[25:26], v54 offset0:28 offset1:82
	s_waitcnt lgkmcnt(2)
	v_lshrrev_b32_e32 v46, 16, v21
	v_lshrrev_b32_e32 v47, 16, v22
	s_waitcnt lgkmcnt(1)
	v_lshrrev_b32_e32 v59, 16, v23
	v_lshrrev_b32_e32 v91, 16, v24
	ds_read2_b32 v[32:33], v54 offset0:136 offset1:190
	s_waitcnt lgkmcnt(1)
	v_lshrrev_b32_e32 v92, 16, v25
	v_lshrrev_b32_e32 v93, 16, v26
	v_add_u32_e32 v53, 0xa00, v60
	ds_read2_b32 v[35:36], v53 offset0:116 offset1:170
	s_waitcnt lgkmcnt(1)
	v_lshrrev_b32_e32 v94, 16, v32
	v_lshrrev_b32_e32 v95, 16, v33
	;; [unrolled: 1-line block ×3, first 2 shown]
	s_mov_b32 s2, 0xb9a8
	s_waitcnt lgkmcnt(0)
	v_lshrrev_b32_e32 v96, 16, v35
	v_lshrrev_b32_e32 v97, 16, v36
	s_movk_i32 s3, 0x39a8
	s_mov_b32 s14, 0xbb64
	s_movk_i32 s16, 0x361f
	s_mov_b32 s15, 0xb61f
	s_movk_i32 s17, 0x3b64
	s_waitcnt vmcnt(0)
	v_mul_f16_sdwa v100, v18, v12 dst_sel:DWORD dst_unused:UNUSED_PAD src0_sel:DWORD src1_sel:WORD_1
	v_fma_f16 v100, v31, v12, -v100
	v_mul_f16_sdwa v31, v31, v12 dst_sel:DWORD dst_unused:UNUSED_PAD src0_sel:DWORD src1_sel:WORD_1
	v_fma_f16 v31, v18, v12, v31
	v_mul_f16_sdwa v18, v40, v13 dst_sel:DWORD dst_unused:UNUSED_PAD src0_sel:DWORD src1_sel:WORD_1
	v_fma_f16 v101, v16, v13, -v18
	v_mul_f16_sdwa v16, v16, v13 dst_sel:DWORD dst_unused:UNUSED_PAD src0_sel:DWORD src1_sel:WORD_1
	v_fma_f16 v40, v40, v13, v16
	;; [unrolled: 4-line block ×4, first 2 shown]
	global_load_dwordx4 v[16:19], v[37:38], off offset:76
	s_waitcnt vmcnt(0)
	v_mul_f16_sdwa v104, v45, v16 dst_sel:DWORD dst_unused:UNUSED_PAD src0_sel:DWORD src1_sel:WORD_1
	v_fma_f16 v104, v20, v16, -v104
	v_mul_f16_sdwa v20, v20, v16 dst_sel:DWORD dst_unused:UNUSED_PAD src0_sel:DWORD src1_sel:WORD_1
	v_fma_f16 v45, v45, v16, v20
	v_mul_f16_sdwa v20, v46, v17 dst_sel:DWORD dst_unused:UNUSED_PAD src0_sel:DWORD src1_sel:WORD_1
	v_fma_f16 v105, v21, v17, -v20
	v_mul_f16_sdwa v20, v21, v17 dst_sel:DWORD dst_unused:UNUSED_PAD src0_sel:DWORD src1_sel:WORD_1
	v_fma_f16 v46, v46, v17, v20
	;; [unrolled: 4-line block ×4, first 2 shown]
	global_load_dwordx4 v[20:23], v[37:38], off offset:92
	v_sub_f16_e32 v59, v39, v59
	v_fma_f16 v39, v39, 2.0, -v59
	s_waitcnt vmcnt(0)
	v_mul_f16_sdwa v108, v91, v20 dst_sel:DWORD dst_unused:UNUSED_PAD src0_sel:DWORD src1_sel:WORD_1
	v_fma_f16 v108, v24, v20, -v108
	v_mul_f16_sdwa v24, v24, v20 dst_sel:DWORD dst_unused:UNUSED_PAD src0_sel:DWORD src1_sel:WORD_1
	v_fma_f16 v91, v91, v20, v24
	v_mul_f16_sdwa v24, v92, v21 dst_sel:DWORD dst_unused:UNUSED_PAD src0_sel:DWORD src1_sel:WORD_1
	v_fma_f16 v109, v25, v21, -v24
	v_mul_f16_sdwa v24, v25, v21 dst_sel:DWORD dst_unused:UNUSED_PAD src0_sel:DWORD src1_sel:WORD_1
	v_fma_f16 v92, v92, v21, v24
	;; [unrolled: 4-line block ×4, first 2 shown]
	global_load_dwordx3 v[24:26], v[37:38], off offset:108
	v_sub_f16_e32 v92, v40, v92
	v_sub_f16_e32 v32, v44, v32
	v_fma_f16 v44, v44, 2.0, -v32
	v_fma_f16 v40, v40, 2.0, -v92
	v_sub_f16_e32 v91, v31, v91
	v_sub_f16_e32 v93, v42, v93
	v_fma_f16 v31, v31, 2.0, -v91
	v_fma_f16 v42, v42, 2.0, -v93
	v_sub_f16_e32 v44, v39, v44
	v_fma_f16 v39, v39, 2.0, -v44
	s_waitcnt lgkmcnt(0)
	; wave barrier
	s_waitcnt vmcnt(0)
	v_mul_f16_sdwa v38, v96, v25 dst_sel:DWORD dst_unused:UNUSED_PAD src0_sel:DWORD src1_sel:WORD_1
	v_mul_f16_sdwa v37, v95, v24 dst_sel:DWORD dst_unused:UNUSED_PAD src0_sel:DWORD src1_sel:WORD_1
	v_fma_f16 v38, v35, v25, -v38
	v_mul_f16_sdwa v35, v35, v25 dst_sel:DWORD dst_unused:UNUSED_PAD src0_sel:DWORD src1_sel:WORD_1
	v_mul_f16_sdwa v94, v97, v26 dst_sel:DWORD dst_unused:UNUSED_PAD src0_sel:DWORD src1_sel:WORD_1
	v_fma_f16 v37, v33, v24, -v37
	v_mul_f16_sdwa v33, v33, v24 dst_sel:DWORD dst_unused:UNUSED_PAD src0_sel:DWORD src1_sel:WORD_1
	v_fma_f16 v35, v96, v25, v35
	v_fma_f16 v94, v36, v26, -v94
	v_mul_f16_sdwa v36, v36, v26 dst_sel:DWORD dst_unused:UNUSED_PAD src0_sel:DWORD src1_sel:WORD_1
	v_sub_f16_e32 v96, v103, v111
	v_sub_f16_e32 v38, v105, v38
	v_fma_f16 v33, v95, v24, v33
	v_fma_f16 v36, v97, v26, v36
	v_sub_f16_e32 v95, v30, v107
	v_fma_f16 v97, v103, 2.0, -v96
	v_sub_f16_e32 v103, v101, v109
	v_sub_f16_e32 v35, v46, v35
	v_fma_f16 v105, v105, 2.0, -v38
	v_add_f16_e32 v96, v59, v96
	v_add_f16_e32 v38, v92, v38
	v_fma_f16 v46, v46, 2.0, -v35
	v_sub_f16_e32 v37, v104, v37
	v_sub_f16_e32 v94, v106, v94
	;; [unrolled: 1-line block ×3, first 2 shown]
	v_fma_f16 v59, v59, 2.0, -v96
	v_sub_f16_e32 v35, v103, v35
	v_fma_f16 v92, v92, 2.0, -v38
	v_fma_f16 v30, v30, 2.0, -v95
	;; [unrolled: 1-line block ×3, first 2 shown]
	v_sub_f16_e32 v107, v100, v108
	v_sub_f16_e32 v33, v45, v33
	v_fma_f16 v104, v104, 2.0, -v37
	v_sub_f16_e32 v108, v102, v110
	v_sub_f16_e32 v36, v47, v36
	v_fma_f16 v106, v106, 2.0, -v94
	v_fma_f16 v95, v95, 2.0, -v32
	;; [unrolled: 1-line block ×3, first 2 shown]
	v_add_f16_e32 v37, v91, v37
	v_add_f16_e32 v94, v93, v94
	v_fma_f16 v110, v92, s2, v59
	v_fma_f16 v45, v45, 2.0, -v33
	v_fma_f16 v47, v47, 2.0, -v36
	v_sub_f16_e32 v33, v107, v33
	v_fma_f16 v91, v91, 2.0, -v37
	v_sub_f16_e32 v36, v108, v36
	v_fma_f16 v93, v93, 2.0, -v94
	v_fma_f16 v109, v103, s2, v95
	v_fma_f16 v103, v103, s3, v110
	v_fma_f16 v110, v38, s3, v96
	v_fma_f16 v100, v100, 2.0, -v107
	v_fma_f16 v102, v102, 2.0, -v108
	;; [unrolled: 1-line block ×4, first 2 shown]
	v_fma_f16 v92, v92, s2, v109
	v_fma_f16 v109, v35, s3, v32
	v_fma_f16 v35, v35, s3, v110
	v_fma_f16 v110, v93, s2, v91
	v_fma_f16 v38, v38, s2, v109
	v_fma_f16 v109, v108, s2, v107
	v_fma_f16 v108, v108, s3, v110
	v_sub_f16_e32 v97, v30, v97
	v_sub_f16_e32 v46, v40, v46
	v_sub_f16_e32 v104, v100, v104
	v_sub_f16_e32 v47, v42, v47
	v_fma_f16 v59, v59, 2.0, -v103
	v_fma_f16 v93, v93, s2, v109
	v_fma_f16 v91, v91, 2.0, -v108
	v_fma_f16 v110, v94, s3, v37
	v_sub_f16_e32 v105, v101, v105
	v_fma_f16 v40, v40, 2.0, -v46
	v_sub_f16_e32 v45, v31, v45
	v_sub_f16_e32 v106, v102, v106
	v_fma_f16 v42, v42, 2.0, -v47
	v_fma_f16 v95, v95, 2.0, -v92
	v_sub_f16_e32 v46, v97, v46
	v_fma_f16 v107, v107, 2.0, -v93
	v_sub_f16_e32 v47, v104, v47
	v_fma_f16 v109, v36, s3, v33
	v_fma_f16 v36, v36, s3, v110
	v_fma_f16 v110, v91, s14, v59
	v_fma_f16 v30, v30, 2.0, -v97
	v_fma_f16 v101, v101, 2.0, -v105
	;; [unrolled: 1-line block ×4, first 2 shown]
	v_add_f16_e32 v105, v44, v105
	v_fma_f16 v97, v97, 2.0, -v46
	v_add_f16_e32 v106, v45, v106
	v_fma_f16 v104, v104, 2.0, -v47
	v_fma_f16 v94, v94, s2, v109
	v_fma_f16 v109, v107, s14, v95
	v_fma_f16 v107, v107, s16, v110
	v_fma_f16 v31, v31, 2.0, -v45
	v_fma_f16 v44, v44, 2.0, -v105
	;; [unrolled: 1-line block ×6, first 2 shown]
	v_fma_f16 v59, v104, s2, v97
	v_fma_f16 v96, v96, 2.0, -v35
	v_fma_f16 v37, v37, 2.0, -v36
	v_fma_f16 v109, v91, s15, v109
	v_fma_f16 v91, v45, s2, v44
	;; [unrolled: 1-line block ×12, first 2 shown]
	v_sub_f16_e32 v101, v30, v101
	v_sub_f16_e32 v40, v39, v40
	;; [unrolled: 1-line block ×4, first 2 shown]
	v_fma_f16 v93, v93, s17, v91
	v_fma_f16 v91, v106, s3, v105
	;; [unrolled: 1-line block ×4, first 2 shown]
	v_fma_f16 v30, v30, 2.0, -v101
	v_fma_f16 v39, v39, 2.0, -v40
	;; [unrolled: 1-line block ×4, first 2 shown]
	v_fma_f16 v59, v36, s15, v59
	v_sub_f16_e32 v100, v30, v100
	v_sub_f16_e32 v31, v39, v31
	v_fma_f16 v47, v47, s3, v91
	v_fma_f16 v91, v36, s17, v35
	v_fma_f16 v36, v38, 2.0, -v59
	v_mul_u32_u24_e32 v38, 0x120, v98
	v_fma_f16 v30, v30, 2.0, -v100
	v_fma_f16 v39, v39, 2.0, -v31
	;; [unrolled: 1-line block ×3, first 2 shown]
	v_or_b32_e32 v38, v38, v99
	v_fma_f16 v97, v97, 2.0, -v45
	v_fma_f16 v44, v44, 2.0, -v104
	;; [unrolled: 1-line block ×4, first 2 shown]
	v_sub_f16_e32 v42, v101, v42
	v_add_f16_e32 v102, v40, v102
	v_fma_f16 v95, v94, s16, v91
	v_lshlrev_b32_e32 v91, 2, v38
	v_pack_b32_f16 v30, v30, v39
	v_pack_b32_f16 v38, v110, v111
	v_fma_f16 v101, v101, 2.0, -v42
	v_fma_f16 v40, v40, 2.0, -v102
	;; [unrolled: 1-line block ×4, first 2 shown]
	ds_write2_b32 v91, v30, v38 offset1:18
	v_pack_b32_f16 v30, v97, v44
	v_pack_b32_f16 v32, v32, v96
	v_fma_f16 v46, v46, 2.0, -v106
	v_fma_f16 v105, v105, 2.0, -v47
	;; [unrolled: 1-line block ×3, first 2 shown]
	ds_write2_b32 v91, v30, v32 offset0:36 offset1:54
	v_pack_b32_f16 v30, v101, v40
	v_pack_b32_f16 v32, v92, v103
	ds_write2_b32 v91, v30, v32 offset0:72 offset1:90
	v_pack_b32_f16 v30, v46, v105
	v_pack_b32_f16 v32, v36, v35
	;; [unrolled: 3-line block ×6, first 2 shown]
	v_add_u32_e32 v32, 0x200, v91
	ds_write2_b32 v32, v30, v31 offset0:124 offset1:142
	s_waitcnt lgkmcnt(0)
	; wave barrier
	s_waitcnt lgkmcnt(0)
	ds_read2_b32 v[46:47], v60 offset1:54
	ds_read2_b32 v[42:43], v43 offset0:88 offset1:160
	ds_read2_b32 v[35:36], v54 offset0:64 offset1:118
	;; [unrolled: 1-line block ×6, first 2 shown]
	ds_read_b32 v92, v60 offset:3168
	s_and_saveexec_b64 s[2:3], s[0:1]
	s_cbranch_execz .LBB0_13
; %bb.12:
	ds_read_b32 v59, v60 offset:1080
	ds_read_b32 v55, v60 offset:2232
	;; [unrolled: 1-line block ×3, first 2 shown]
	s_waitcnt lgkmcnt(2)
	v_lshrrev_b32_e32 v95, 16, v59
	s_waitcnt lgkmcnt(1)
	v_lshrrev_b32_e32 v58, 16, v55
	;; [unrolled: 2-line block ×3, first 2 shown]
.LBB0_13:
	s_or_b64 exec, exec, s[2:3]
	v_lshlrev_b32_e32 v32, 3, v75
	global_load_dwordx2 v[32:33], v32, s[4:5] offset:1140
	s_waitcnt lgkmcnt(6)
	v_lshrrev_b32_e32 v94, 16, v43
	s_waitcnt lgkmcnt(5)
	v_lshrrev_b32_e32 v96, 16, v35
	v_lshlrev_b32_e32 v34, 3, v34
	s_waitcnt lgkmcnt(4)
	v_lshrrev_b32_e32 v98, 16, v37
	v_lshrrev_b32_e32 v99, 16, v36
	;; [unrolled: 1-line block ×3, first 2 shown]
	s_waitcnt lgkmcnt(2)
	v_lshrrev_b32_e32 v102, 16, v39
	s_waitcnt lgkmcnt(1)
	v_lshrrev_b32_e32 v104, 16, v30
	v_lshrrev_b32_e32 v105, 16, v40
	;; [unrolled: 1-line block ×3, first 2 shown]
	s_waitcnt lgkmcnt(0)
	v_lshrrev_b32_e32 v108, 16, v92
	s_movk_i32 s2, 0xffee
	v_lshrrev_b32_e32 v93, 16, v46
	v_lshrrev_b32_e32 v97, 16, v47
	;; [unrolled: 1-line block ×5, first 2 shown]
	s_waitcnt vmcnt(0)
	v_mul_f16_sdwa v109, v94, v32 dst_sel:DWORD dst_unused:UNUSED_PAD src0_sel:DWORD src1_sel:WORD_1
	v_fma_f16 v109, v43, v32, -v109
	v_mul_f16_sdwa v43, v43, v32 dst_sel:DWORD dst_unused:UNUSED_PAD src0_sel:DWORD src1_sel:WORD_1
	v_fma_f16 v43, v94, v32, v43
	v_mul_f16_sdwa v94, v96, v33 dst_sel:DWORD dst_unused:UNUSED_PAD src0_sel:DWORD src1_sel:WORD_1
	v_fma_f16 v94, v35, v33, -v94
	v_mul_f16_sdwa v35, v35, v33 dst_sel:DWORD dst_unused:UNUSED_PAD src0_sel:DWORD src1_sel:WORD_1
	v_fma_f16 v96, v96, v33, v35
	global_load_dwordx2 v[34:35], v34, s[4:5] offset:1140
	s_waitcnt vmcnt(0)
	v_mul_f16_sdwa v110, v98, v34 dst_sel:DWORD dst_unused:UNUSED_PAD src0_sel:DWORD src1_sel:WORD_1
	v_fma_f16 v110, v37, v34, -v110
	v_mul_f16_sdwa v37, v37, v34 dst_sel:DWORD dst_unused:UNUSED_PAD src0_sel:DWORD src1_sel:WORD_1
	v_fma_f16 v98, v98, v34, v37
	v_mul_f16_sdwa v37, v99, v35 dst_sel:DWORD dst_unused:UNUSED_PAD src0_sel:DWORD src1_sel:WORD_1
	v_fma_f16 v111, v36, v35, -v37
	v_mul_f16_sdwa v36, v36, v35 dst_sel:DWORD dst_unused:UNUSED_PAD src0_sel:DWORD src1_sel:WORD_1
	v_fma_f16 v99, v99, v35, v36
	v_lshlrev_b32_e32 v36, 3, v51
	global_load_dwordx2 v[36:37], v36, s[4:5] offset:1140
	s_waitcnt vmcnt(0)
	v_mul_f16_sdwa v51, v101, v36 dst_sel:DWORD dst_unused:UNUSED_PAD src0_sel:DWORD src1_sel:WORD_1
	v_fma_f16 v51, v38, v36, -v51
	v_mul_f16_sdwa v38, v38, v36 dst_sel:DWORD dst_unused:UNUSED_PAD src0_sel:DWORD src1_sel:WORD_1
	v_fma_f16 v101, v101, v36, v38
	v_mul_f16_sdwa v38, v102, v37 dst_sel:DWORD dst_unused:UNUSED_PAD src0_sel:DWORD src1_sel:WORD_1
	v_fma_f16 v112, v39, v37, -v38
	v_mul_f16_sdwa v38, v39, v37 dst_sel:DWORD dst_unused:UNUSED_PAD src0_sel:DWORD src1_sel:WORD_1
	v_fma_f16 v102, v102, v37, v38
	v_lshlrev_b32_e32 v38, 3, v50
	;; [unrolled: 11-line block ×3, first 2 shown]
	global_load_dwordx2 v[40:41], v30, s[4:5] offset:1140
	s_waitcnt vmcnt(0)
	v_mul_f16_sdwa v30, v107, v40 dst_sel:DWORD dst_unused:UNUSED_PAD src0_sel:DWORD src1_sel:WORD_1
	v_fma_f16 v114, v31, v40, -v30
	v_mul_f16_sdwa v30, v31, v40 dst_sel:DWORD dst_unused:UNUSED_PAD src0_sel:DWORD src1_sel:WORD_1
	v_fma_f16 v107, v107, v40, v30
	v_mul_f16_sdwa v30, v108, v41 dst_sel:DWORD dst_unused:UNUSED_PAD src0_sel:DWORD src1_sel:WORD_1
	v_fma_f16 v115, v92, v41, -v30
	v_mul_f16_sdwa v30, v92, v41 dst_sel:DWORD dst_unused:UNUSED_PAD src0_sel:DWORD src1_sel:WORD_1
	v_fma_f16 v92, v108, v41, v30
	v_add_co_u32_e64 v30, s[2:3], s2, v75
	v_addc_co_u32_e64 v31, s[2:3], 0, -1, s[2:3]
	v_cndmask_b32_e64 v31, v31, v49, s[0:1]
	v_cndmask_b32_e64 v30, v30, v48, s[0:1]
	v_lshlrev_b64 v[30:31], 3, v[30:31]
	v_mov_b32_e32 v48, s5
	v_add_co_u32_e64 v30, s[2:3], s4, v30
	v_addc_co_u32_e64 v31, s[2:3], v48, v31, s[2:3]
	global_load_dwordx2 v[30:31], v[30:31], off offset:1140
	s_movk_i32 s2, 0x3aee
	s_mov_b32 s3, 0xbaee
	s_waitcnt vmcnt(0)
	v_mul_f16_sdwa v48, v58, v30 dst_sel:DWORD dst_unused:UNUSED_PAD src0_sel:DWORD src1_sel:WORD_1
	v_fma_f16 v48, v55, v30, -v48
	v_mul_f16_sdwa v49, v55, v30 dst_sel:DWORD dst_unused:UNUSED_PAD src0_sel:DWORD src1_sel:WORD_1
	v_mul_f16_sdwa v55, v57, v31 dst_sel:DWORD dst_unused:UNUSED_PAD src0_sel:DWORD src1_sel:WORD_1
	v_fma_f16 v49, v58, v30, v49
	v_fma_f16 v55, v56, v31, -v55
	v_mul_f16_sdwa v56, v56, v31 dst_sel:DWORD dst_unused:UNUSED_PAD src0_sel:DWORD src1_sel:WORD_1
	v_add_f16_e32 v58, v109, v94
	v_fma_f16 v56, v57, v31, v56
	v_add_f16_e32 v57, v46, v109
	v_fma_f16 v46, v58, -0.5, v46
	v_sub_f16_e32 v58, v43, v96
	v_fma_f16 v108, v58, s2, v46
	v_fma_f16 v58, v58, s3, v46
	v_add_f16_e32 v46, v93, v43
	v_add_f16_e32 v43, v43, v96
	v_add_f16_e32 v116, v46, v96
	v_fma_f16 v43, v43, -0.5, v93
	v_sub_f16_e32 v46, v109, v94
	v_fma_f16 v109, v46, s3, v43
	v_fma_f16 v43, v46, s2, v43
	v_add_f16_e32 v46, v47, v110
	v_add_f16_e32 v117, v46, v111
	;; [unrolled: 7-line block ×10, first 2 shown]
	v_fma_f16 v59, v92, -0.5, v59
	v_sub_f16_e32 v93, v49, v56
	v_fma_f16 v92, v93, s2, v59
	v_fma_f16 v93, v93, s3, v59
	v_add_f16_e32 v59, v95, v49
	v_add_f16_e32 v49, v49, v56
	;; [unrolled: 1-line block ×3, first 2 shown]
	v_fma_f16 v49, v49, -0.5, v95
	v_sub_f16_e32 v48, v48, v55
	v_pack_b32_f16 v43, v58, v43
	v_fma_f16 v95, v48, s3, v49
	v_fma_f16 v96, v48, s2, v49
	v_pack_b32_f16 v48, v57, v116
	v_pack_b32_f16 v49, v108, v109
	ds_write_b32 v60, v43 offset:2304
	v_pack_b32_f16 v43, v117, v119
	ds_write_b32 v60, v49 offset:1152
	ds_write2_b32 v60, v48, v43 offset1:54
	v_pack_b32_f16 v43, v118, v97
	v_pack_b32_f16 v49, v110, v100
	;; [unrolled: 1-line block ×3, first 2 shown]
	ds_write2_b32 v52, v43, v49 offset0:86 offset1:140
	v_pack_b32_f16 v43, v44, v51
	v_pack_b32_f16 v48, v99, v111
	ds_write2_b32 v54, v47, v43 offset0:118 offset1:172
	v_pack_b32_f16 v43, v101, v112
	v_pack_b32_f16 v44, v45, v50
	;; [unrolled: 1-line block ×3, first 2 shown]
	v_add_f16_e32 v46, v46, v55
	v_add_f16_e32 v94, v59, v56
	ds_write2_b32 v60, v48, v43 offset0:108 offset1:162
	v_pack_b32_f16 v43, v102, v103
	ds_write_b32 v60, v45 offset:864
	v_pack_b32_f16 v45, v105, v106
	v_pack_b32_f16 v42, v42, v107
	ds_write2_b32 v52, v43, v45 offset0:194 offset1:248
	ds_write2_b32 v53, v44, v42 offset0:98 offset1:152
	s_and_saveexec_b64 s[2:3], s[0:1]
	s_cbranch_execz .LBB0_15
; %bb.14:
	s_mov_b32 s4, 0x5040100
	v_perm_b32 v42, v94, v46, s4
	ds_write_b32 v60, v42 offset:1080
	v_perm_b32 v42, v95, v92, s4
	ds_write_b32 v60, v42 offset:2232
	;; [unrolled: 2-line block ×3, first 2 shown]
.LBB0_15:
	s_or_b64 exec, exec, s[2:3]
	s_waitcnt lgkmcnt(0)
	; wave barrier
	s_waitcnt lgkmcnt(0)
	global_load_dword v49, v[27:28], off offset:3456
	s_add_u32 s2, s12, 0xd80
	s_addc_u32 s3, s13, 0
	v_lshlrev_b32_e32 v42, 2, v75
	global_load_dword v50, v42, s[2:3] offset:216
	global_load_dword v59, v42, s[2:3] offset:1152
	;; [unrolled: 1-line block ×10, first 2 shown]
	ds_read2_b32 v[47:48], v60 offset1:54
	global_load_dword v105, v42, s[2:3] offset:864
	global_load_dword v106, v42, s[2:3] offset:2952
	;; [unrolled: 1-line block ×4, first 2 shown]
	v_add_u32_e32 v45, 0x200, v60
	v_add_u32_e32 v44, 0x800, v60
	;; [unrolled: 1-line block ×3, first 2 shown]
	s_waitcnt lgkmcnt(0)
	v_lshrrev_b32_e32 v51, 16, v47
	v_lshrrev_b32_e32 v52, 16, v48
	s_waitcnt vmcnt(14)
	v_mul_f16_sdwa v53, v51, v49 dst_sel:DWORD dst_unused:UNUSED_PAD src0_sel:DWORD src1_sel:WORD_1
	v_mul_f16_sdwa v54, v47, v49 dst_sel:DWORD dst_unused:UNUSED_PAD src0_sel:DWORD src1_sel:WORD_1
	v_fma_f16 v47, v47, v49, -v53
	v_fma_f16 v49, v51, v49, v54
	v_pack_b32_f16 v47, v47, v49
	s_waitcnt vmcnt(13)
	v_mul_f16_sdwa v49, v52, v50 dst_sel:DWORD dst_unused:UNUSED_PAD src0_sel:DWORD src1_sel:WORD_1
	v_mul_f16_sdwa v51, v48, v50 dst_sel:DWORD dst_unused:UNUSED_PAD src0_sel:DWORD src1_sel:WORD_1
	ds_write_b32 v60, v47
	v_fma_f16 v53, v48, v50, -v49
	v_fma_f16 v51, v52, v50, v51
	ds_read2_b32 v[47:48], v45 offset0:88 offset1:160
	ds_read2_b32 v[49:50], v44 offset0:64 offset1:118
	v_pack_b32_f16 v109, v53, v51
	ds_read2_b32 v[51:52], v43 offset0:86 offset1:140
	ds_read2_b32 v[53:54], v60 offset0:108 offset1:162
	;; [unrolled: 1-line block ×4, first 2 shown]
	s_waitcnt lgkmcnt(5)
	v_lshrrev_b32_e32 v110, 16, v48
	s_waitcnt vmcnt(12)
	v_mul_f16_sdwa v111, v48, v59 dst_sel:DWORD dst_unused:UNUSED_PAD src0_sel:DWORD src1_sel:WORD_1
	s_waitcnt lgkmcnt(4)
	v_lshrrev_b32_e32 v112, 16, v49
	s_waitcnt vmcnt(11)
	v_mul_f16_sdwa v113, v49, v97 dst_sel:DWORD dst_unused:UNUSED_PAD src0_sel:DWORD src1_sel:WORD_1
	s_waitcnt lgkmcnt(3)
	v_lshrrev_b32_e32 v114, 16, v51
	s_waitcnt vmcnt(10)
	v_mul_f16_sdwa v115, v51, v98 dst_sel:DWORD dst_unused:UNUSED_PAD src0_sel:DWORD src1_sel:WORD_1
	v_lshrrev_b32_e32 v116, 16, v50
	s_waitcnt vmcnt(9)
	v_mul_f16_sdwa v117, v50, v99 dst_sel:DWORD dst_unused:UNUSED_PAD src0_sel:DWORD src1_sel:WORD_1
	s_waitcnt lgkmcnt(2)
	v_lshrrev_b32_e32 v118, 16, v53
	s_waitcnt vmcnt(8)
	v_mul_f16_sdwa v119, v53, v100 dst_sel:DWORD dst_unused:UNUSED_PAD src0_sel:DWORD src1_sel:WORD_1
	v_lshrrev_b32_e32 v120, 16, v52
	s_waitcnt vmcnt(7)
	v_mul_f16_sdwa v121, v52, v101 dst_sel:DWORD dst_unused:UNUSED_PAD src0_sel:DWORD src1_sel:WORD_1
	s_waitcnt lgkmcnt(1)
	v_lshrrev_b32_e32 v122, 16, v55
	v_mul_f16_sdwa v126, v110, v59 dst_sel:DWORD dst_unused:UNUSED_PAD src0_sel:DWORD src1_sel:WORD_1
	v_fma_f16 v110, v110, v59, v111
	v_mul_f16_sdwa v111, v112, v97 dst_sel:DWORD dst_unused:UNUSED_PAD src0_sel:DWORD src1_sel:WORD_1
	v_fma_f16 v112, v112, v97, v113
	v_mul_f16_sdwa v113, v114, v98 dst_sel:DWORD dst_unused:UNUSED_PAD src0_sel:DWORD src1_sel:WORD_1
	s_waitcnt vmcnt(6)
	v_mul_f16_sdwa v123, v55, v102 dst_sel:DWORD dst_unused:UNUSED_PAD src0_sel:DWORD src1_sel:WORD_1
	v_fma_f16 v114, v114, v98, v115
	v_mul_f16_sdwa v115, v116, v99 dst_sel:DWORD dst_unused:UNUSED_PAD src0_sel:DWORD src1_sel:WORD_1
	v_fma_f16 v116, v116, v99, v117
	;; [unrolled: 2-line block ×4, first 2 shown]
	v_mul_f16_sdwa v121, v122, v102 dst_sel:DWORD dst_unused:UNUSED_PAD src0_sel:DWORD src1_sel:WORD_1
	v_fma_f16 v48, v48, v59, -v126
	v_fma_f16 v51, v51, v98, -v113
	v_fma_f16 v122, v122, v102, v123
	v_fma_f16 v50, v50, v99, -v115
	v_fma_f16 v53, v53, v100, -v117
	v_fma_f16 v55, v55, v102, -v121
	v_pack_b32_f16 v48, v48, v110
	v_pack_b32_f16 v51, v51, v114
	;; [unrolled: 1-line block ×5, first 2 shown]
	ds_write2_b32 v43, v48, v51 offset0:32 offset1:86
	ds_write2_b32 v60, v109, v53 offset0:54 offset1:108
	;; [unrolled: 1-line block ×3, first 2 shown]
	s_waitcnt lgkmcnt(3)
	v_lshrrev_b32_e32 v48, 16, v57
	s_waitcnt vmcnt(4)
	v_mul_f16_sdwa v50, v48, v104 dst_sel:DWORD dst_unused:UNUSED_PAD src0_sel:DWORD src1_sel:WORD_1
	v_mul_f16_sdwa v51, v57, v104 dst_sel:DWORD dst_unused:UNUSED_PAD src0_sel:DWORD src1_sel:WORD_1
	v_fma_f16 v52, v52, v101, -v119
	v_fma_f16 v50, v57, v104, -v50
	v_fma_f16 v48, v48, v104, v51
	v_pack_b32_f16 v52, v52, v120
	v_pack_b32_f16 v48, v50, v48
	ds_write2_b32 v43, v52, v48 offset0:140 offset1:194
	v_lshrrev_b32_e32 v48, 16, v56
	s_waitcnt vmcnt(2)
	v_mul_f16_sdwa v50, v48, v106 dst_sel:DWORD dst_unused:UNUSED_PAD src0_sel:DWORD src1_sel:WORD_1
	v_mul_f16_sdwa v51, v56, v106 dst_sel:DWORD dst_unused:UNUSED_PAD src0_sel:DWORD src1_sel:WORD_1
	v_fma_f16 v50, v56, v106, -v50
	v_fma_f16 v48, v48, v106, v51
	v_pack_b32_f16 v48, v50, v48
	v_lshrrev_b32_e32 v50, 16, v47
	v_lshrrev_b32_e32 v124, 16, v54
	v_mul_f16_sdwa v51, v50, v105 dst_sel:DWORD dst_unused:UNUSED_PAD src0_sel:DWORD src1_sel:WORD_1
	v_mul_f16_sdwa v125, v54, v103 dst_sel:DWORD dst_unused:UNUSED_PAD src0_sel:DWORD src1_sel:WORD_1
	;; [unrolled: 1-line block ×3, first 2 shown]
	v_fma_f16 v51, v47, v105, -v51
	v_mul_f16_sdwa v47, v47, v105 dst_sel:DWORD dst_unused:UNUSED_PAD src0_sel:DWORD src1_sel:WORD_1
	v_fma_f16 v124, v124, v103, v125
	v_fma_f16 v54, v54, v103, -v123
	v_fma_f16 v47, v50, v105, v47
	v_pack_b32_f16 v54, v54, v124
	v_pack_b32_f16 v47, v51, v47
	ds_read_b32 v52, v60 offset:3168
	ds_write2_b32 v60, v54, v47 offset0:162 offset1:216
	v_lshrrev_b32_e32 v47, 16, v58
	s_waitcnt vmcnt(0)
	v_mul_f16_sdwa v50, v47, v108 dst_sel:DWORD dst_unused:UNUSED_PAD src0_sel:DWORD src1_sel:WORD_1
	v_mul_f16_sdwa v51, v58, v108 dst_sel:DWORD dst_unused:UNUSED_PAD src0_sel:DWORD src1_sel:WORD_1
	v_fma_f16 v49, v49, v97, -v111
	v_fma_f16 v50, v58, v108, -v50
	v_fma_f16 v47, v47, v108, v51
	v_pack_b32_f16 v49, v49, v112
	v_pack_b32_f16 v47, v50, v47
	v_add_u32_e32 v50, 0x600, v60
	ds_write2_b32 v50, v47, v49 offset0:120 offset1:192
	s_waitcnt lgkmcnt(2)
	v_lshrrev_b32_e32 v47, 16, v52
	v_mul_f16_sdwa v49, v47, v107 dst_sel:DWORD dst_unused:UNUSED_PAD src0_sel:DWORD src1_sel:WORD_1
	v_mul_f16_sdwa v50, v52, v107 dst_sel:DWORD dst_unused:UNUSED_PAD src0_sel:DWORD src1_sel:WORD_1
	v_fma_f16 v49, v52, v107, -v49
	v_fma_f16 v47, v47, v107, v50
	v_pack_b32_f16 v47, v49, v47
	v_add_u32_e32 v49, 0xa00, v60
	ds_write2_b32 v49, v48, v47 offset0:98 offset1:152
	s_and_saveexec_b64 s[4:5], s[0:1]
	s_cbranch_execz .LBB0_17
; %bb.16:
	v_mov_b32_e32 v48, s3
	v_add_co_u32_e64 v47, s[2:3], s2, v42
	v_addc_co_u32_e64 v48, s[2:3], 0, v48, s[2:3]
	global_load_dword v42, v[47:48], off offset:1080
	global_load_dword v49, v[47:48], off offset:2232
	;; [unrolled: 1-line block ×3, first 2 shown]
	ds_read_b32 v47, v60 offset:1080
	ds_read_b32 v48, v60 offset:2232
	;; [unrolled: 1-line block ×3, first 2 shown]
	s_waitcnt lgkmcnt(2)
	v_lshrrev_b32_e32 v52, 16, v47
	s_waitcnt lgkmcnt(1)
	v_lshrrev_b32_e32 v53, 16, v48
	s_waitcnt lgkmcnt(0)
	v_lshrrev_b32_e32 v54, 16, v51
	s_waitcnt vmcnt(2)
	v_mul_f16_sdwa v55, v52, v42 dst_sel:DWORD dst_unused:UNUSED_PAD src0_sel:DWORD src1_sel:WORD_1
	v_mul_f16_sdwa v56, v47, v42 dst_sel:DWORD dst_unused:UNUSED_PAD src0_sel:DWORD src1_sel:WORD_1
	s_waitcnt vmcnt(1)
	v_mul_f16_sdwa v57, v53, v49 dst_sel:DWORD dst_unused:UNUSED_PAD src0_sel:DWORD src1_sel:WORD_1
	v_mul_f16_sdwa v58, v48, v49 dst_sel:DWORD dst_unused:UNUSED_PAD src0_sel:DWORD src1_sel:WORD_1
	;; [unrolled: 3-line block ×3, first 2 shown]
	v_fma_f16 v47, v47, v42, -v55
	v_fma_f16 v42, v52, v42, v56
	v_fma_f16 v48, v48, v49, -v57
	v_fma_f16 v49, v53, v49, v58
	;; [unrolled: 2-line block ×3, first 2 shown]
	v_pack_b32_f16 v42, v47, v42
	v_pack_b32_f16 v47, v48, v49
	;; [unrolled: 1-line block ×3, first 2 shown]
	ds_write_b32 v60, v42 offset:1080
	ds_write_b32 v60, v47 offset:2232
	;; [unrolled: 1-line block ×3, first 2 shown]
.LBB0_17:
	s_or_b64 exec, exec, s[4:5]
	s_waitcnt lgkmcnt(0)
	; wave barrier
	s_waitcnt lgkmcnt(0)
	ds_read2_b32 v[54:55], v60 offset1:54
	ds_read2_b32 v[58:59], v45 offset0:88 offset1:160
	ds_read2_b32 v[56:57], v44 offset0:64 offset1:118
	;; [unrolled: 1-line block ×6, first 2 shown]
	ds_read_b32 v43, v60 offset:3168
	s_and_saveexec_b64 s[2:3], s[0:1]
	s_cbranch_execz .LBB0_19
; %bb.18:
	ds_read_b32 v46, v60 offset:1080
	ds_read_b32 v92, v60 offset:2232
	ds_read_b32 v93, v60 offset:3384
	s_waitcnt lgkmcnt(2)
	v_lshrrev_b32_e32 v94, 16, v46
	s_waitcnt lgkmcnt(1)
	v_lshrrev_b32_e32 v95, 16, v92
	;; [unrolled: 2-line block ×3, first 2 shown]
.LBB0_19:
	s_or_b64 exec, exec, s[2:3]
	s_waitcnt lgkmcnt(0)
	v_pk_add_f16 v47, v45, v43
	v_pk_add_f16 v42, v58, v45
	v_pk_fma_f16 v58, v47, 0.5, v58 op_sel_hi:[1,0,1] neg_lo:[1,0,0] neg_hi:[1,0,0]
	v_add_f16_e32 v47, v92, v93
	s_movk_i32 s2, 0x3aee
	v_fma_f16 v47, v47, -0.5, v46
	v_sub_f16_e32 v97, v95, v96
	s_mov_b32 s3, 0xbaee
	v_pk_add_f16 v42, v42, v43
	v_pk_add_f16 v43, v45, v43 neg_lo:[0,1] neg_hi:[0,1]
	v_add_f16_e32 v45, v92, v46
	v_fma_f16 v46, v97, s3, v47
	v_fma_f16 v47, v97, s2, v47
	v_add_f16_e32 v97, v95, v94
	v_add_f16_e32 v95, v95, v96
	v_pk_add_f16 v98, v54, v59
	v_add_f16_e32 v45, v93, v45
	v_fma_f16 v94, v95, -0.5, v94
	v_sub_f16_e32 v93, v92, v93
	v_fma_f16 v92, v93, s2, v94
	v_fma_f16 v93, v93, s3, v94
	v_pk_add_f16 v94, v98, v56
	v_pk_add_f16 v95, v59, v56
	v_pk_add_f16 v56, v59, v56 neg_lo:[0,1] neg_hi:[0,1]
	v_pk_fma_f16 v54, v95, 0.5, v54 op_sel_hi:[1,0,1] neg_lo:[1,0,0] neg_hi:[1,0,0]
	v_pk_mul_f16 v56, v56, s2 op_sel_hi:[1,0]
	v_pk_add_f16 v59, v54, v56 op_sel:[0,1] op_sel_hi:[1,0] neg_lo:[0,1] neg_hi:[0,1]
	v_pk_add_f16 v54, v54, v56 op_sel:[0,1] op_sel_hi:[1,0]
	s_mov_b32 s3, 0xffff
	v_bfi_b32 v56, s3, v59, v54
	v_pk_add_f16 v99, v55, v52
	s_waitcnt lgkmcnt(0)
	; wave barrier
	ds_write2_b32 v79, v94, v56 offset1:1
	v_pk_add_f16 v56, v52, v57
	v_pk_add_f16 v52, v52, v57 neg_lo:[0,1] neg_hi:[0,1]
	v_pk_fma_f16 v55, v56, 0.5, v55 op_sel_hi:[1,0,1] neg_lo:[1,0,0] neg_hi:[1,0,0]
	v_pk_mul_f16 v52, v52, s2 op_sel_hi:[1,0]
	v_bfi_b32 v54, s3, v54, v59
	v_pk_add_f16 v56, v55, v52 op_sel:[0,1] op_sel_hi:[1,0] neg_lo:[0,1] neg_hi:[0,1]
	v_pk_add_f16 v52, v55, v52 op_sel:[0,1] op_sel_hi:[1,0]
	v_pk_add_f16 v100, v48, v53
	ds_write_b32 v79, v54 offset:8
	v_pk_add_f16 v54, v99, v57
	v_bfi_b32 v55, s3, v56, v52
	v_bfi_b32 v52, s3, v52, v56
	ds_write2_b32 v80, v54, v55 offset1:1
	ds_write_b32 v80, v52 offset:8
	v_pk_add_f16 v52, v100, v50
	v_pk_add_f16 v54, v53, v50
	v_pk_add_f16 v50, v53, v50 neg_lo:[0,1] neg_hi:[0,1]
	v_pk_fma_f16 v48, v54, 0.5, v48 op_sel_hi:[1,0,1] neg_lo:[1,0,0] neg_hi:[1,0,0]
	v_pk_mul_f16 v50, v50, s2 op_sel_hi:[1,0]
	v_pk_add_f16 v53, v48, v50 op_sel:[0,1] op_sel_hi:[1,0] neg_lo:[0,1] neg_hi:[0,1]
	v_pk_add_f16 v48, v48, v50 op_sel:[0,1] op_sel_hi:[1,0]
	v_bfi_b32 v50, s3, v53, v48
	v_pk_add_f16 v101, v49, v44
	ds_write2_b32 v81, v52, v50 offset1:1
	v_pk_add_f16 v50, v44, v51
	v_pk_add_f16 v44, v44, v51 neg_lo:[0,1] neg_hi:[0,1]
	v_pk_fma_f16 v49, v50, 0.5, v49 op_sel_hi:[1,0,1] neg_lo:[1,0,0] neg_hi:[1,0,0]
	v_pk_mul_f16 v44, v44, s2 op_sel_hi:[1,0]
	v_bfi_b32 v48, s3, v48, v53
	v_pk_add_f16 v50, v49, v44 op_sel:[0,1] op_sel_hi:[1,0] neg_lo:[0,1] neg_hi:[0,1]
	v_pk_add_f16 v44, v49, v44 op_sel:[0,1] op_sel_hi:[1,0]
	v_pk_mul_f16 v102, v43, s2 op_sel_hi:[1,0]
	ds_write_b32 v81, v48 offset:8
	v_pk_add_f16 v48, v101, v51
	v_bfi_b32 v49, s3, v50, v44
	v_bfi_b32 v44, s3, v44, v50
	v_pk_add_f16 v43, v58, v102 op_sel:[0,1] op_sel_hi:[1,0] neg_lo:[0,1] neg_hi:[0,1]
	ds_write2_b32 v82, v48, v49 offset1:1
	ds_write_b32 v82, v44 offset:8
	ds_write_b32 v84, v42
	v_pk_add_f16 v44, v58, v102 op_sel:[0,1] op_sel_hi:[1,0]
	v_add_f16_e32 v97, v96, v97
	v_bfi_b32 v48, s3, v44, v43
	v_bfi_b32 v49, s3, v43, v44
	ds_write2_b32 v84, v49, v48 offset0:1 offset1:2
	s_and_saveexec_b64 s[2:3], s[0:1]
	s_cbranch_execz .LBB0_21
; %bb.20:
	s_mov_b32 s4, 0x5040100
	v_lshlrev_b32_e32 v48, 2, v83
	v_perm_b32 v49, v92, v46, s4
	v_perm_b32 v50, v97, v45, s4
	ds_write2_b32 v48, v50, v49 offset1:1
	v_perm_b32 v49, v93, v47, s4
	ds_write_b32 v48, v49 offset:8
.LBB0_21:
	s_or_b64 exec, exec, s[2:3]
	v_add_u32_e32 v50, 0x400, v60
	v_add_u32_e32 v52, 0x800, v60
	;; [unrolled: 1-line block ×3, first 2 shown]
	s_waitcnt lgkmcnt(0)
	; wave barrier
	s_waitcnt lgkmcnt(0)
	ds_read2_b32 v[48:49], v60 offset1:54
	ds_read2_b32 v[56:57], v60 offset0:144 offset1:198
	ds_read2_b32 v[58:59], v50 offset0:32 offset1:86
	;; [unrolled: 1-line block ×5, first 2 shown]
	v_lshrrev_b32_e32 v79, 16, v43
	v_lshrrev_b32_e32 v80, 16, v44
	s_and_saveexec_b64 s[2:3], vcc
	s_cbranch_execz .LBB0_23
; %bb.22:
	v_add_u32_e32 v44, 0x600, v60
	ds_read2_b32 v[42:43], v60 offset0:108 offset1:252
	ds_read2_b32 v[44:45], v44 offset0:12 offset1:156
	;; [unrolled: 1-line block ×3, first 2 shown]
	s_waitcnt lgkmcnt(2)
	v_lshrrev_b32_e32 v80, 16, v43
	s_waitcnt lgkmcnt(1)
	v_lshrrev_b32_e32 v79, 16, v44
	v_lshrrev_b32_e32 v97, 16, v45
	s_waitcnt lgkmcnt(0)
	v_lshrrev_b32_e32 v92, 16, v46
	v_lshrrev_b32_e32 v93, 16, v47
.LBB0_23:
	s_or_b64 exec, exec, s[2:3]
	s_waitcnt lgkmcnt(4)
	v_lshrrev_b32_e32 v82, 16, v56
	v_mul_f16_sdwa v103, v0, v82 dst_sel:DWORD dst_unused:UNUSED_PAD src0_sel:WORD_1 src1_sel:DWORD
	s_waitcnt lgkmcnt(3)
	v_lshrrev_b32_e32 v83, 16, v58
	v_fma_f16 v103, v0, v56, v103
	v_mul_f16_sdwa v56, v0, v56 dst_sel:DWORD dst_unused:UNUSED_PAD src0_sel:WORD_1 src1_sel:DWORD
	v_fma_f16 v56, v0, v82, -v56
	v_mul_f16_sdwa v0, v1, v83 dst_sel:DWORD dst_unused:UNUSED_PAD src0_sel:WORD_1 src1_sel:DWORD
	s_waitcnt lgkmcnt(2)
	v_lshrrev_b32_e32 v84, 16, v50
	v_fma_f16 v82, v1, v58, v0
	v_mul_f16_sdwa v0, v1, v58 dst_sel:DWORD dst_unused:UNUSED_PAD src0_sel:WORD_1 src1_sel:DWORD
	v_fma_f16 v58, v1, v83, -v0
	;; [unrolled: 6-line block ×4, first 2 shown]
	v_mul_f16_sdwa v0, v85, v95 dst_sel:DWORD dst_unused:UNUSED_PAD src0_sel:WORD_1 src1_sel:DWORD
	v_lshrrev_b32_e32 v98, 16, v57
	v_fma_f16 v94, v85, v54, v0
	v_mul_f16_sdwa v0, v85, v54 dst_sel:DWORD dst_unused:UNUSED_PAD src0_sel:WORD_1 src1_sel:DWORD
	v_fma_f16 v54, v85, v95, -v0
	v_mul_f16_sdwa v0, v4, v98 dst_sel:DWORD dst_unused:UNUSED_PAD src0_sel:WORD_1 src1_sel:DWORD
	v_lshrrev_b32_e32 v99, 16, v59
	v_fma_f16 v85, v4, v57, v0
	v_mul_f16_sdwa v0, v4, v57 dst_sel:DWORD dst_unused:UNUSED_PAD src0_sel:WORD_1 src1_sel:DWORD
	v_fma_f16 v57, v4, v98, -v0
	;; [unrolled: 5-line block ×5, first 2 shown]
	v_mul_f16_sdwa v0, v87, v102 dst_sel:DWORD dst_unused:UNUSED_PAD src0_sel:WORD_1 src1_sel:DWORD
	v_fma_f16 v100, v87, v55, v0
	v_mul_f16_sdwa v0, v87, v55 dst_sel:DWORD dst_unused:UNUSED_PAD src0_sel:WORD_1 src1_sel:DWORD
	v_mul_f16_sdwa v5, v10, v45 dst_sel:DWORD dst_unused:UNUSED_PAD src0_sel:WORD_1 src1_sel:DWORD
	v_fma_f16 v55, v87, v102, -v0
	v_mul_f16_sdwa v0, v8, v80 dst_sel:DWORD dst_unused:UNUSED_PAD src0_sel:WORD_1 src1_sel:DWORD
	v_mul_f16_sdwa v1, v8, v43 dst_sel:DWORD dst_unused:UNUSED_PAD src0_sel:WORD_1 src1_sel:DWORD
	v_fma_f16 v6, v10, v97, -v5
	v_mul_f16_sdwa v5, v11, v92 dst_sel:DWORD dst_unused:UNUSED_PAD src0_sel:WORD_1 src1_sel:DWORD
	v_mul_f16_sdwa v7, v11, v46 dst_sel:DWORD dst_unused:UNUSED_PAD src0_sel:WORD_1 src1_sel:DWORD
	v_fma_f16 v0, v8, v43, v0
	v_fma_f16 v2, v8, v80, -v1
	v_mul_f16_sdwa v3, v9, v44 dst_sel:DWORD dst_unused:UNUSED_PAD src0_sel:WORD_1 src1_sel:DWORD
	v_fma_f16 v5, v11, v46, v5
	v_fma_f16 v8, v11, v92, -v7
	v_add_f16_e32 v11, v82, v84
	v_lshrrev_b32_e32 v81, 16, v48
	v_mul_f16_sdwa v1, v9, v79 dst_sel:DWORD dst_unused:UNUSED_PAD src0_sel:WORD_1 src1_sel:DWORD
	v_fma_f16 v4, v9, v79, -v3
	v_mul_f16_sdwa v3, v10, v97 dst_sel:DWORD dst_unused:UNUSED_PAD src0_sel:WORD_1 src1_sel:DWORD
	v_fma_f16 v11, v11, -0.5, v48
	v_sub_f16_e32 v43, v58, v52
	s_mov_b32 s2, 0xbaee
	s_movk_i32 s3, 0x3aee
	v_fma_f16 v1, v9, v44, v1
	v_fma_f16 v3, v10, v45, v3
	v_add_f16_e32 v10, v48, v82
	v_fma_f16 v44, v43, s2, v11
	v_fma_f16 v11, v43, s3, v11
	v_add_f16_e32 v43, v81, v58
	v_add_f16_e32 v48, v83, v94
	;; [unrolled: 1-line block ×4, first 2 shown]
	v_fma_f16 v48, v48, -0.5, v103
	v_sub_f16_e32 v52, v50, v54
	v_fma_f16 v58, v52, s2, v48
	v_fma_f16 v48, v52, s3, v48
	v_add_f16_e32 v52, v56, v50
	v_add_f16_e32 v50, v50, v54
	;; [unrolled: 1-line block ×3, first 2 shown]
	v_fma_f16 v50, v50, -0.5, v56
	v_sub_f16_e32 v54, v83, v94
	v_fma_f16 v56, v54, s3, v50
	v_fma_f16 v50, v54, s2, v50
	v_mul_f16_sdwa v7, v86, v93 dst_sel:DWORD dst_unused:UNUSED_PAD src0_sel:WORD_1 src1_sel:DWORD
	v_fma_f16 v45, v45, -0.5, v81
	v_sub_f16_e32 v46, v82, v84
	v_mul_f16_e32 v81, 0xbaee, v50
	v_mul_f16_e32 v50, -0.5, v50
	v_fma_f16 v7, v86, v47, v7
	v_mul_f16_sdwa v9, v86, v47 dst_sel:DWORD dst_unused:UNUSED_PAD src0_sel:WORD_1 src1_sel:DWORD
	v_fma_f16 v47, v46, s3, v45
	v_fma_f16 v45, v46, s2, v45
	v_add_f16_e32 v46, v103, v83
	v_fma_f16 v81, v48, -0.5, v81
	v_fma_f16 v48, v48, s3, v50
	v_add_f16_e32 v10, v10, v84
	v_add_f16_e32 v46, v46, v94
	;; [unrolled: 1-line block ×4, first 2 shown]
	v_sub_f16_e32 v81, v11, v81
	v_sub_f16_e32 v92, v45, v48
	v_add_f16_e32 v11, v95, v99
	v_add_f16_e32 v48, v98, v100
	v_lshrrev_b32_e32 v96, 16, v49
	v_fma_f16 v9, v86, v93, -v9
	v_add_f16_e32 v54, v10, v46
	v_mul_f16_e32 v79, 0xbaee, v56
	v_sub_f16_e32 v86, v10, v46
	v_add_f16_e32 v10, v49, v95
	v_fma_f16 v11, v11, -0.5, v49
	v_fma_f16 v48, v48, -0.5, v85
	v_sub_f16_e32 v49, v51, v55
	v_fma_f16 v79, v58, 0.5, v79
	v_add_f16_e32 v83, v43, v52
	v_mul_f16_e32 v56, 0.5, v56
	v_sub_f16_e32 v87, v43, v52
	v_sub_f16_e32 v43, v59, v53
	v_add_f16_e32 v45, v59, v53
	v_fma_f16 v50, v49, s2, v48
	v_fma_f16 v48, v49, s3, v48
	v_add_f16_e32 v49, v57, v51
	v_add_f16_e32 v51, v51, v55
	v_add_f16_e32 v80, v44, v79
	v_fma_f16 v56, v58, s3, v56
	v_sub_f16_e32 v79, v44, v79
	v_fma_f16 v44, v43, s2, v11
	v_fma_f16 v11, v43, s3, v11
	v_add_f16_e32 v43, v96, v59
	v_fma_f16 v45, v45, -0.5, v96
	v_sub_f16_e32 v46, v95, v99
	v_fma_f16 v51, v51, -0.5, v57
	v_sub_f16_e32 v52, v98, v100
	v_add_f16_e32 v58, v47, v56
	v_sub_f16_e32 v56, v47, v56
	v_add_f16_e32 v43, v43, v53
	v_fma_f16 v47, v46, s3, v45
	v_fma_f16 v45, v46, s2, v45
	v_add_f16_e32 v46, v85, v98
	v_fma_f16 v53, v52, s3, v51
	v_fma_f16 v51, v52, s2, v51
	v_add_f16_e32 v10, v10, v99
	v_add_f16_e32 v46, v46, v100
	v_mul_f16_e32 v59, 0xbaee, v51
	v_add_f16_e32 v49, v49, v55
	v_add_f16_e32 v55, v10, v46
	v_fma_f16 v59, v48, -0.5, v59
	v_sub_f16_e32 v96, v10, v46
	v_add_f16_e32 v10, v5, v1
	v_mul_f16_e32 v52, 0xbaee, v53
	v_add_f16_e32 v85, v11, v59
	v_add_f16_e32 v93, v43, v49
	v_sub_f16_e32 v59, v11, v59
	v_sub_f16_e32 v98, v43, v49
	v_fma_f16 v11, v10, -0.5, v42
	v_sub_f16_e32 v43, v4, v8
	v_fma_f16 v52, v50, 0.5, v52
	v_mul_f16_e32 v53, 0.5, v53
	v_mul_f16_e32 v51, -0.5, v51
	v_fma_f16 v10, v43, s2, v11
	v_fma_f16 v11, v43, s3, v11
	v_add_f16_e32 v43, v8, v4
	v_lshrrev_b32_e32 v49, 16, v42
	v_add_f16_e32 v57, v44, v52
	v_fma_f16 v50, v50, s3, v53
	v_fma_f16 v48, v48, s3, v51
	v_sub_f16_e32 v97, v44, v52
	v_fma_f16 v43, v43, -0.5, v49
	v_sub_f16_e32 v44, v1, v5
	v_add_f16_e32 v94, v47, v50
	v_add_f16_e32 v95, v45, v48
	v_sub_f16_e32 v99, v47, v50
	v_sub_f16_e32 v100, v45, v48
	v_fma_f16 v47, v44, s3, v43
	v_fma_f16 v48, v44, s2, v43
	v_add_f16_e32 v43, v7, v3
	v_fma_f16 v43, v43, -0.5, v0
	v_sub_f16_e32 v44, v6, v9
	v_fma_f16 v45, v44, s2, v43
	v_fma_f16 v43, v44, s3, v43
	v_add_f16_e32 v44, v9, v6
	v_fma_f16 v44, v44, -0.5, v2
	v_sub_f16_e32 v46, v3, v7
	v_fma_f16 v52, v46, s3, v44
	v_pack_b32_f16 v54, v54, v83
	v_pack_b32_f16 v58, v80, v58
	v_fma_f16 v44, v46, s2, v44
	v_mul_f16_e32 v46, 0xbaee, v52
	s_waitcnt lgkmcnt(0)
	; wave barrier
	ds_write2_b32 v88, v54, v58 offset1:3
	v_pack_b32_f16 v54, v82, v84
	v_pack_b32_f16 v58, v86, v87
	v_fma_f16 v50, v45, 0.5, v46
	v_mul_f16_e32 v46, 0xbaee, v44
	ds_write2_b32 v88, v54, v58 offset0:6 offset1:9
	v_pack_b32_f16 v54, v79, v56
	v_pack_b32_f16 v56, v81, v92
	v_fma_f16 v51, v43, -0.5, v46
	v_mul_f16_e32 v46, 0.5, v52
	v_mul_f16_e32 v44, -0.5, v44
	ds_write2_b32 v88, v54, v56 offset0:12 offset1:15
	v_pack_b32_f16 v54, v55, v93
	v_pack_b32_f16 v55, v57, v94
	v_fma_f16 v52, v45, s3, v46
	v_fma_f16 v53, v43, s3, v44
	ds_write2_b32 v90, v54, v55 offset1:3
	v_pack_b32_f16 v54, v85, v95
	v_pack_b32_f16 v55, v96, v98
	v_sub_f16_e32 v43, v10, v50
	v_sub_f16_e32 v44, v11, v51
	;; [unrolled: 1-line block ×4, first 2 shown]
	ds_write2_b32 v90, v54, v55 offset0:6 offset1:9
	v_pack_b32_f16 v54, v97, v99
	v_pack_b32_f16 v55, v59, v100
	ds_write2_b32 v90, v54, v55 offset0:12 offset1:15
	s_and_saveexec_b64 s[2:3], vcc
	s_cbranch_execz .LBB0_25
; %bb.24:
	v_add_f16_e32 v4, v4, v49
	v_add_f16_e32 v2, v6, v2
	;; [unrolled: 1-line block ×8, first 2 shown]
	v_sub_f16_e32 v6, v4, v2
	v_sub_f16_e32 v3, v1, v0
	v_add_f16_e32 v7, v47, v52
	v_add_f16_e32 v2, v4, v2
	;; [unrolled: 1-line block ×6, first 2 shown]
	v_add_lshl_u32 v1, v89, v78, 2
	v_pack_b32_f16 v0, v0, v2
	v_pack_b32_f16 v2, v8, v7
	ds_write2_b32 v1, v0, v2 offset1:3
	v_pack_b32_f16 v0, v4, v5
	v_pack_b32_f16 v2, v3, v6
	s_mov_b32 s4, 0x5040100
	ds_write2_b32 v1, v0, v2 offset0:6 offset1:9
	v_perm_b32 v0, v45, v43, s4
	v_perm_b32 v2, v46, v44, s4
	ds_write2_b32 v1, v0, v2 offset0:12 offset1:15
.LBB0_25:
	s_or_b64 exec, exec, s[2:3]
	s_waitcnt lgkmcnt(0)
	; wave barrier
	s_waitcnt lgkmcnt(0)
	ds_read2_b32 v[0:1], v60 offset1:54
	ds_read2_b32 v[2:3], v60 offset0:108 offset1:162
	v_add_u32_e32 v56, 0x200, v60
	ds_read2_b32 v[4:5], v56 offset0:88 offset1:142
	v_add_u32_e32 v42, 0x400, v60
	s_waitcnt lgkmcnt(2)
	v_lshrrev_b32_e32 v54, 16, v1
	v_mul_f16_sdwa v88, v12, v54 dst_sel:DWORD dst_unused:UNUSED_PAD src0_sel:WORD_1 src1_sel:DWORD
	s_waitcnt lgkmcnt(1)
	v_lshrrev_b32_e32 v55, 16, v2
	v_fma_f16 v88, v12, v1, v88
	v_mul_f16_sdwa v1, v12, v1 dst_sel:DWORD dst_unused:UNUSED_PAD src0_sel:WORD_1 src1_sel:DWORD
	v_fma_f16 v1, v12, v54, -v1
	v_mul_f16_sdwa v12, v13, v55 dst_sel:DWORD dst_unused:UNUSED_PAD src0_sel:WORD_1 src1_sel:DWORD
	v_lshrrev_b32_e32 v57, 16, v3
	v_fma_f16 v12, v13, v2, v12
	v_mul_f16_sdwa v2, v13, v2 dst_sel:DWORD dst_unused:UNUSED_PAD src0_sel:WORD_1 src1_sel:DWORD
	ds_read2_b32 v[6:7], v42 offset0:68 offset1:122
	v_fma_f16 v2, v13, v55, -v2
	v_mul_f16_sdwa v13, v14, v57 dst_sel:DWORD dst_unused:UNUSED_PAD src0_sel:WORD_1 src1_sel:DWORD
	s_waitcnt lgkmcnt(1)
	v_lshrrev_b32_e32 v58, 16, v4
	v_fma_f16 v13, v14, v3, v13
	v_mul_f16_sdwa v3, v14, v3 dst_sel:DWORD dst_unused:UNUSED_PAD src0_sel:WORD_1 src1_sel:DWORD
	v_fma_f16 v3, v14, v57, -v3
	v_mul_f16_sdwa v14, v15, v58 dst_sel:DWORD dst_unused:UNUSED_PAD src0_sel:WORD_1 src1_sel:DWORD
	v_lshrrev_b32_e32 v59, 16, v5
	v_fma_f16 v14, v15, v4, v14
	v_mul_f16_sdwa v4, v15, v4 dst_sel:DWORD dst_unused:UNUSED_PAD src0_sel:WORD_1 src1_sel:DWORD
	ds_read2_b32 v[8:9], v42 offset0:176 offset1:230
	v_fma_f16 v4, v15, v58, -v4
	v_mul_f16_sdwa v15, v16, v59 dst_sel:DWORD dst_unused:UNUSED_PAD src0_sel:WORD_1 src1_sel:DWORD
	s_waitcnt lgkmcnt(1)
	v_lshrrev_b32_e32 v78, 16, v6
	v_fma_f16 v15, v16, v5, v15
	v_mul_f16_sdwa v5, v16, v5 dst_sel:DWORD dst_unused:UNUSED_PAD src0_sel:WORD_1 src1_sel:DWORD
	v_fma_f16 v5, v16, v59, -v5
	v_mul_f16_sdwa v16, v17, v78 dst_sel:DWORD dst_unused:UNUSED_PAD src0_sel:WORD_1 src1_sel:DWORD
	v_lshrrev_b32_e32 v79, 16, v7
	v_add_u32_e32 v47, 0x800, v60
	v_fma_f16 v16, v17, v6, v16
	v_mul_f16_sdwa v6, v17, v6 dst_sel:DWORD dst_unused:UNUSED_PAD src0_sel:WORD_1 src1_sel:DWORD
	ds_read2_b32 v[10:11], v47 offset0:28 offset1:82
	v_fma_f16 v6, v17, v78, -v6
	v_mul_f16_sdwa v17, v18, v79 dst_sel:DWORD dst_unused:UNUSED_PAD src0_sel:WORD_1 src1_sel:DWORD
	s_waitcnt lgkmcnt(1)
	v_lshrrev_b32_e32 v80, 16, v8
	v_fma_f16 v17, v18, v7, v17
	v_mul_f16_sdwa v7, v18, v7 dst_sel:DWORD dst_unused:UNUSED_PAD src0_sel:WORD_1 src1_sel:DWORD
	v_fma_f16 v7, v18, v79, -v7
	v_mul_f16_sdwa v18, v19, v80 dst_sel:DWORD dst_unused:UNUSED_PAD src0_sel:WORD_1 src1_sel:DWORD
	v_lshrrev_b32_e32 v81, 16, v9
	v_fma_f16 v18, v19, v8, v18
	v_mul_f16_sdwa v8, v19, v8 dst_sel:DWORD dst_unused:UNUSED_PAD src0_sel:WORD_1 src1_sel:DWORD
	ds_read2_b32 v[49:50], v47 offset0:136 offset1:190
	v_fma_f16 v8, v19, v80, -v8
	v_mul_f16_sdwa v19, v20, v81 dst_sel:DWORD dst_unused:UNUSED_PAD src0_sel:WORD_1 src1_sel:DWORD
	s_waitcnt lgkmcnt(1)
	v_lshrrev_b32_e32 v82, 16, v10
	v_fma_f16 v19, v20, v9, v19
	v_mul_f16_sdwa v9, v20, v9 dst_sel:DWORD dst_unused:UNUSED_PAD src0_sel:WORD_1 src1_sel:DWORD
	v_fma_f16 v9, v20, v81, -v9
	v_mul_f16_sdwa v20, v21, v82 dst_sel:DWORD dst_unused:UNUSED_PAD src0_sel:WORD_1 src1_sel:DWORD
	v_add_u32_e32 v48, 0xa00, v60
	v_lshrrev_b32_e32 v83, 16, v11
	v_fma_f16 v20, v21, v10, v20
	v_mul_f16_sdwa v10, v21, v10 dst_sel:DWORD dst_unused:UNUSED_PAD src0_sel:WORD_1 src1_sel:DWORD
	ds_read2_b32 v[51:52], v48 offset0:116 offset1:170
	v_fma_f16 v10, v21, v82, -v10
	v_mul_f16_sdwa v21, v22, v83 dst_sel:DWORD dst_unused:UNUSED_PAD src0_sel:WORD_1 src1_sel:DWORD
	s_waitcnt lgkmcnt(1)
	v_lshrrev_b32_e32 v84, 16, v49
	v_fma_f16 v21, v22, v11, v21
	v_mul_f16_sdwa v11, v22, v11 dst_sel:DWORD dst_unused:UNUSED_PAD src0_sel:WORD_1 src1_sel:DWORD
	v_fma_f16 v11, v22, v83, -v11
	v_mul_f16_sdwa v22, v23, v84 dst_sel:DWORD dst_unused:UNUSED_PAD src0_sel:WORD_1 src1_sel:DWORD
	v_lshrrev_b32_e32 v85, 16, v50
	v_fma_f16 v22, v23, v49, v22
	v_mul_f16_sdwa v49, v23, v49 dst_sel:DWORD dst_unused:UNUSED_PAD src0_sel:WORD_1 src1_sel:DWORD
	v_fma_f16 v23, v23, v84, -v49
	v_mul_f16_sdwa v49, v24, v85 dst_sel:DWORD dst_unused:UNUSED_PAD src0_sel:WORD_1 src1_sel:DWORD
	s_waitcnt lgkmcnt(0)
	v_lshrrev_b32_e32 v86, 16, v51
	v_fma_f16 v49, v24, v50, v49
	v_mul_f16_sdwa v50, v24, v50 dst_sel:DWORD dst_unused:UNUSED_PAD src0_sel:WORD_1 src1_sel:DWORD
	v_fma_f16 v24, v24, v85, -v50
	v_mul_f16_sdwa v50, v25, v86 dst_sel:DWORD dst_unused:UNUSED_PAD src0_sel:WORD_1 src1_sel:DWORD
	v_lshrrev_b32_e32 v87, 16, v52
	v_fma_f16 v50, v25, v51, v50
	v_mul_f16_sdwa v51, v25, v51 dst_sel:DWORD dst_unused:UNUSED_PAD src0_sel:WORD_1 src1_sel:DWORD
	v_fma_f16 v25, v25, v86, -v51
	v_mul_f16_sdwa v51, v26, v87 dst_sel:DWORD dst_unused:UNUSED_PAD src0_sel:WORD_1 src1_sel:DWORD
	v_lshrrev_b32_e32 v53, 16, v0
	v_fma_f16 v51, v26, v52, v51
	v_mul_f16_sdwa v52, v26, v52 dst_sel:DWORD dst_unused:UNUSED_PAD src0_sel:WORD_1 src1_sel:DWORD
	v_sub_f16_e32 v18, v0, v18
	v_sub_f16_e32 v23, v4, v23
	;; [unrolled: 1-line block ×4, first 2 shown]
	v_fma_f16 v26, v26, v87, -v52
	v_sub_f16_e32 v8, v53, v8
	v_sub_f16_e32 v22, v14, v22
	v_fma_f16 v4, v4, 2.0, -v23
	v_sub_f16_e32 v10, v2, v10
	v_sub_f16_e32 v50, v16, v50
	v_fma_f16 v6, v6, 2.0, -v25
	v_add_f16_e32 v23, v18, v23
	v_add_f16_e32 v25, v20, v25
	v_fma_f16 v0, v0, 2.0, -v18
	v_fma_f16 v14, v14, 2.0, -v22
	;; [unrolled: 1-line block ×4, first 2 shown]
	v_sub_f16_e32 v19, v88, v19
	v_sub_f16_e32 v24, v5, v24
	;; [unrolled: 1-line block ×5, first 2 shown]
	v_fma_f16 v18, v18, 2.0, -v23
	v_sub_f16_e32 v50, v10, v50
	v_fma_f16 v20, v20, 2.0, -v25
	s_mov_b32 s2, 0xb9a8
	v_fma_f16 v52, v53, 2.0, -v8
	v_fma_f16 v2, v2, 2.0, -v10
	v_sub_f16_e32 v9, v1, v9
	v_sub_f16_e32 v49, v15, v49
	v_fma_f16 v5, v5, 2.0, -v24
	v_sub_f16_e32 v11, v3, v11
	v_sub_f16_e32 v51, v17, v51
	v_fma_f16 v7, v7, 2.0, -v26
	v_fma_f16 v8, v8, 2.0, -v22
	;; [unrolled: 1-line block ×3, first 2 shown]
	v_add_f16_e32 v24, v19, v24
	v_add_f16_e32 v26, v21, v26
	v_fma_f16 v54, v20, s2, v18
	s_movk_i32 s3, 0x39a8
	v_fma_f16 v53, v88, 2.0, -v19
	v_fma_f16 v15, v15, 2.0, -v49
	;; [unrolled: 1-line block ×4, first 2 shown]
	v_sub_f16_e32 v49, v9, v49
	v_fma_f16 v19, v19, 2.0, -v24
	v_sub_f16_e32 v51, v11, v51
	v_fma_f16 v21, v21, 2.0, -v26
	v_fma_f16 v55, v10, s2, v8
	v_fma_f16 v10, v10, s3, v54
	;; [unrolled: 1-line block ×3, first 2 shown]
	v_fma_f16 v1, v1, 2.0, -v9
	v_fma_f16 v3, v3, 2.0, -v11
	;; [unrolled: 1-line block ×4, first 2 shown]
	v_fma_f16 v20, v20, s2, v55
	v_fma_f16 v55, v50, s3, v22
	;; [unrolled: 1-line block ×4, first 2 shown]
	v_sub_f16_e32 v14, v0, v14
	v_sub_f16_e32 v6, v2, v6
	;; [unrolled: 1-line block ×4, first 2 shown]
	v_fma_f16 v25, v25, s2, v55
	v_fma_f16 v55, v11, s2, v9
	;; [unrolled: 1-line block ×3, first 2 shown]
	v_sub_f16_e32 v4, v52, v4
	v_sub_f16_e32 v16, v12, v16
	v_fma_f16 v2, v2, 2.0, -v6
	v_sub_f16_e32 v5, v1, v5
	v_sub_f16_e32 v17, v13, v17
	v_fma_f16 v3, v3, 2.0, -v7
	v_fma_f16 v18, v18, 2.0, -v10
	v_add_f16_e32 v6, v14, v6
	v_fma_f16 v21, v21, s2, v55
	v_fma_f16 v19, v19, 2.0, -v11
	v_add_f16_e32 v7, v15, v7
	v_fma_f16 v54, v26, s3, v24
	s_mov_b32 s4, 0xbb64
	v_fma_f16 v0, v0, 2.0, -v14
	v_fma_f16 v12, v12, 2.0, -v16
	;; [unrolled: 1-line block ×5, first 2 shown]
	v_sub_f16_e32 v16, v4, v16
	v_fma_f16 v14, v14, 2.0, -v6
	v_fma_f16 v9, v9, 2.0, -v21
	v_sub_f16_e32 v17, v5, v17
	v_fma_f16 v15, v15, 2.0, -v7
	v_fma_f16 v55, v51, s3, v49
	v_fma_f16 v51, v51, s3, v54
	;; [unrolled: 1-line block ×3, first 2 shown]
	s_movk_i32 s5, 0x361f
	v_fma_f16 v52, v52, 2.0, -v4
	v_fma_f16 v1, v1, 2.0, -v5
	;; [unrolled: 1-line block ×4, first 2 shown]
	v_fma_f16 v26, v26, s2, v55
	v_fma_f16 v55, v9, s4, v8
	;; [unrolled: 1-line block ×3, first 2 shown]
	s_mov_b32 s12, 0xb61f
	v_fma_f16 v54, v15, s2, v14
	v_sub_f16_e32 v12, v0, v12
	v_sub_f16_e32 v2, v52, v2
	v_fma_f16 v23, v23, 2.0, -v50
	v_fma_f16 v22, v22, 2.0, -v25
	v_sub_f16_e32 v13, v53, v13
	v_sub_f16_e32 v3, v1, v3
	v_fma_f16 v24, v24, 2.0, -v51
	v_fma_f16 v49, v49, 2.0, -v26
	v_fma_f16 v19, v19, s12, v55
	v_fma_f16 v55, v5, s2, v4
	v_fma_f16 v5, v5, s3, v54
	v_fma_f16 v0, v0, 2.0, -v12
	v_fma_f16 v52, v52, 2.0, -v2
	;; [unrolled: 1-line block ×4, first 2 shown]
	v_fma_f16 v54, v15, s2, v55
	v_fma_f16 v55, v14, 2.0, -v5
	v_fma_f16 v14, v24, s12, v23
	v_fma_f16 v15, v49, s12, v22
	s_movk_i32 s13, 0x3b64
	v_sub_f16_e32 v53, v0, v53
	v_sub_f16_e32 v1, v52, v1
	v_fma_f16 v49, v49, s13, v14
	v_fma_f16 v24, v24, s4, v15
	;; [unrolled: 1-line block ×4, first 2 shown]
	v_fma_f16 v0, v0, 2.0, -v53
	v_fma_f16 v52, v52, 2.0, -v1
	;; [unrolled: 1-line block ×4, first 2 shown]
	v_fma_f16 v21, v21, s13, v14
	v_fma_f16 v11, v11, s4, v15
	;; [unrolled: 1-line block ×4, first 2 shown]
	v_fma_f16 v4, v4, 2.0, -v54
	v_fma_f16 v23, v23, 2.0, -v49
	;; [unrolled: 1-line block ×3, first 2 shown]
	v_add_f16_e32 v3, v12, v3
	v_sub_f16_e32 v13, v2, v13
	v_fma_f16 v17, v17, s3, v14
	v_fma_f16 v7, v7, s2, v15
	;; [unrolled: 1-line block ×4, first 2 shown]
	v_pack_b32_f16 v0, v0, v52
	v_pack_b32_f16 v8, v18, v8
	v_fma_f16 v12, v12, 2.0, -v3
	v_fma_f16 v2, v2, 2.0, -v13
	;; [unrolled: 1-line block ×4, first 2 shown]
	v_fma_f16 v14, v26, s5, v14
	v_fma_f16 v15, v51, s12, v15
	s_waitcnt lgkmcnt(0)
	; wave barrier
	ds_write2_b32 v91, v0, v8 offset1:18
	v_pack_b32_f16 v0, v55, v4
	v_pack_b32_f16 v4, v23, v22
	v_fma_f16 v6, v6, 2.0, -v17
	v_fma_f16 v16, v16, 2.0, -v7
	;; [unrolled: 1-line block ×4, first 2 shown]
	ds_write2_b32 v91, v0, v4 offset0:36 offset1:54
	v_pack_b32_f16 v0, v12, v2
	v_pack_b32_f16 v2, v10, v20
	ds_write2_b32 v91, v0, v2 offset0:72 offset1:90
	v_pack_b32_f16 v0, v6, v16
	v_pack_b32_f16 v2, v26, v25
	;; [unrolled: 3-line block ×6, first 2 shown]
	v_add_u32_e32 v2, 0x200, v91
	ds_write2_b32 v2, v0, v1 offset0:124 offset1:142
	s_waitcnt lgkmcnt(0)
	; wave barrier
	s_waitcnt lgkmcnt(0)
	ds_read2_b32 v[4:5], v60 offset1:54
	ds_read2_b32 v[0:1], v56 offset0:88 offset1:160
	ds_read2_b32 v[12:13], v47 offset0:64 offset1:118
	;; [unrolled: 1-line block ×6, first 2 shown]
	ds_read_b32 v16, v60 offset:3168
	s_and_saveexec_b64 s[2:3], s[0:1]
	s_cbranch_execz .LBB0_27
; %bb.26:
	ds_read_b32 v14, v60 offset:1080
	ds_read_b32 v43, v60 offset:2232
	;; [unrolled: 1-line block ×3, first 2 shown]
	s_waitcnt lgkmcnt(2)
	v_lshrrev_b32_e32 v15, 16, v14
	s_waitcnt lgkmcnt(1)
	v_lshrrev_b32_e32 v45, 16, v43
	;; [unrolled: 2-line block ×3, first 2 shown]
.LBB0_27:
	s_or_b64 exec, exec, s[2:3]
	s_waitcnt lgkmcnt(6)
	v_lshrrev_b32_e32 v18, 16, v1
	v_mul_f16_sdwa v54, v32, v18 dst_sel:DWORD dst_unused:UNUSED_PAD src0_sel:WORD_1 src1_sel:DWORD
	s_waitcnt lgkmcnt(5)
	v_lshrrev_b32_e32 v19, 16, v12
	v_fma_f16 v54, v32, v1, v54
	v_mul_f16_sdwa v1, v32, v1 dst_sel:DWORD dst_unused:UNUSED_PAD src0_sel:WORD_1 src1_sel:DWORD
	v_fma_f16 v1, v32, v18, -v1
	v_mul_f16_sdwa v18, v33, v19 dst_sel:DWORD dst_unused:UNUSED_PAD src0_sel:WORD_1 src1_sel:DWORD
	s_waitcnt lgkmcnt(4)
	v_lshrrev_b32_e32 v21, 16, v10
	v_fma_f16 v18, v33, v12, v18
	v_mul_f16_sdwa v12, v33, v12 dst_sel:DWORD dst_unused:UNUSED_PAD src0_sel:WORD_1 src1_sel:DWORD
	v_fma_f16 v12, v33, v19, -v12
	v_mul_f16_sdwa v19, v34, v21 dst_sel:DWORD dst_unused:UNUSED_PAD src0_sel:WORD_1 src1_sel:DWORD
	v_lshrrev_b32_e32 v22, 16, v13
	v_fma_f16 v19, v34, v10, v19
	v_mul_f16_sdwa v10, v34, v10 dst_sel:DWORD dst_unused:UNUSED_PAD src0_sel:WORD_1 src1_sel:DWORD
	v_fma_f16 v10, v34, v21, -v10
	v_mul_f16_sdwa v21, v35, v22 dst_sel:DWORD dst_unused:UNUSED_PAD src0_sel:WORD_1 src1_sel:DWORD
	;; [unrolled: 5-line block ×3, first 2 shown]
	s_waitcnt lgkmcnt(2)
	v_lshrrev_b32_e32 v25, 16, v8
	v_fma_f16 v22, v36, v11, v22
	v_mul_f16_sdwa v11, v36, v11 dst_sel:DWORD dst_unused:UNUSED_PAD src0_sel:WORD_1 src1_sel:DWORD
	v_fma_f16 v11, v36, v24, -v11
	v_mul_f16_sdwa v24, v37, v25 dst_sel:DWORD dst_unused:UNUSED_PAD src0_sel:WORD_1 src1_sel:DWORD
	v_add_f16_e32 v36, v54, v18
	v_lshrrev_b32_e32 v17, 16, v4
	v_fma_f16 v24, v37, v8, v24
	v_mul_f16_sdwa v8, v37, v8 dst_sel:DWORD dst_unused:UNUSED_PAD src0_sel:WORD_1 src1_sel:DWORD
	v_add_f16_e32 v35, v4, v54
	v_fma_f16 v4, v36, -0.5, v4
	v_sub_f16_e32 v36, v1, v12
	s_mov_b32 s4, 0xbaee
	s_movk_i32 s5, 0x3aee
	s_waitcnt lgkmcnt(1)
	v_lshrrev_b32_e32 v49, 16, v6
	v_fma_f16 v8, v37, v25, -v8
	v_fma_f16 v37, v36, s4, v4
	v_fma_f16 v4, v36, s5, v4
	v_add_f16_e32 v36, v17, v1
	v_add_f16_e32 v1, v1, v12
	v_mul_f16_sdwa v25, v38, v49 dst_sel:DWORD dst_unused:UNUSED_PAD src0_sel:WORD_1 src1_sel:DWORD
	v_add_f16_e32 v35, v35, v18
	v_add_f16_e32 v36, v36, v12
	v_fma_f16 v1, v1, -0.5, v17
	v_sub_f16_e32 v12, v54, v18
	v_add_f16_e32 v18, v19, v21
	v_lshrrev_b32_e32 v20, 16, v5
	v_fma_f16 v25, v38, v6, v25
	v_mul_f16_sdwa v6, v38, v6 dst_sel:DWORD dst_unused:UNUSED_PAD src0_sel:WORD_1 src1_sel:DWORD
	v_fma_f16 v17, v12, s5, v1
	v_fma_f16 v1, v12, s4, v1
	v_add_f16_e32 v12, v5, v19
	v_fma_f16 v5, v18, -0.5, v5
	v_sub_f16_e32 v18, v10, v13
	v_fma_f16 v6, v38, v49, -v6
	v_fma_f16 v38, v18, s4, v5
	v_fma_f16 v5, v18, s5, v5
	v_add_f16_e32 v18, v20, v10
	v_add_f16_e32 v10, v10, v13
	;; [unrolled: 1-line block ×3, first 2 shown]
	v_fma_f16 v10, v10, -0.5, v20
	v_sub_f16_e32 v13, v19, v21
	v_add_f16_e32 v20, v22, v24
	v_lshrrev_b32_e32 v23, 16, v2
	v_lshrrev_b32_e32 v50, 16, v9
	v_fma_f16 v19, v13, s5, v10
	v_fma_f16 v10, v13, s4, v10
	v_add_f16_e32 v13, v2, v22
	v_fma_f16 v2, v20, -0.5, v2
	v_sub_f16_e32 v20, v11, v8
	v_mul_f16_sdwa v32, v39, v50 dst_sel:DWORD dst_unused:UNUSED_PAD src0_sel:WORD_1 src1_sel:DWORD
	v_add_f16_e32 v12, v12, v21
	v_fma_f16 v21, v20, s4, v2
	v_fma_f16 v2, v20, s5, v2
	v_add_f16_e32 v20, v23, v11
	v_fma_f16 v32, v39, v9, v32
	v_mul_f16_sdwa v9, v39, v9 dst_sel:DWORD dst_unused:UNUSED_PAD src0_sel:WORD_1 src1_sel:DWORD
	v_add_f16_e32 v20, v20, v8
	v_add_f16_e32 v8, v11, v8
	v_lshrrev_b32_e32 v52, 16, v7
	s_waitcnt lgkmcnt(0)
	v_lshrrev_b32_e32 v53, 16, v16
	v_fma_f16 v9, v39, v50, -v9
	v_fma_f16 v8, v8, -0.5, v23
	v_sub_f16_e32 v11, v22, v24
	v_add_f16_e32 v23, v25, v32
	v_lshrrev_b32_e32 v26, 16, v3
	v_mul_f16_sdwa v33, v40, v52 dst_sel:DWORD dst_unused:UNUSED_PAD src0_sel:WORD_1 src1_sel:DWORD
	v_mul_f16_sdwa v34, v41, v53 dst_sel:DWORD dst_unused:UNUSED_PAD src0_sel:WORD_1 src1_sel:DWORD
	v_fma_f16 v22, v11, s5, v8
	v_fma_f16 v8, v11, s4, v8
	v_add_f16_e32 v11, v3, v25
	v_fma_f16 v3, v23, -0.5, v3
	v_sub_f16_e32 v23, v6, v9
	v_fma_f16 v33, v40, v7, v33
	v_mul_f16_sdwa v7, v40, v7 dst_sel:DWORD dst_unused:UNUSED_PAD src0_sel:WORD_1 src1_sel:DWORD
	v_fma_f16 v34, v41, v16, v34
	v_mul_f16_sdwa v16, v41, v16 dst_sel:DWORD dst_unused:UNUSED_PAD src0_sel:WORD_1 src1_sel:DWORD
	v_add_f16_e32 v13, v13, v24
	v_fma_f16 v24, v23, s4, v3
	v_fma_f16 v3, v23, s5, v3
	v_add_f16_e32 v23, v26, v6
	v_add_f16_e32 v6, v6, v9
	v_fma_f16 v7, v40, v52, -v7
	v_fma_f16 v16, v41, v53, -v16
	v_add_f16_e32 v23, v23, v9
	v_fma_f16 v6, v6, -0.5, v26
	v_sub_f16_e32 v9, v25, v32
	v_add_f16_e32 v26, v33, v34
	v_lshrrev_b32_e32 v51, 16, v0
	v_fma_f16 v25, v9, s5, v6
	v_fma_f16 v6, v9, s4, v6
	v_add_f16_e32 v9, v0, v33
	v_fma_f16 v0, v26, -0.5, v0
	v_sub_f16_e32 v26, v7, v16
	v_add_f16_e32 v11, v11, v32
	v_fma_f16 v32, v26, s4, v0
	v_fma_f16 v0, v26, s5, v0
	v_add_f16_e32 v26, v51, v7
	v_add_f16_e32 v7, v7, v16
	;; [unrolled: 1-line block ×3, first 2 shown]
	v_fma_f16 v7, v7, -0.5, v51
	v_sub_f16_e32 v16, v33, v34
	v_pack_b32_f16 v1, v4, v1
	v_fma_f16 v33, v16, s5, v7
	v_fma_f16 v7, v16, s4, v7
	v_pack_b32_f16 v16, v35, v36
	v_pack_b32_f16 v17, v37, v17
	ds_write_b32 v60, v1 offset:2304
	v_pack_b32_f16 v1, v12, v18
	ds_write_b32 v60, v17 offset:1152
	ds_write2_b32 v60, v16, v1 offset1:54
	v_pack_b32_f16 v1, v38, v19
	v_pack_b32_f16 v4, v5, v10
	;; [unrolled: 1-line block ×3, first 2 shown]
	v_add_f16_e32 v9, v9, v34
	ds_write2_b32 v42, v1, v10 offset0:86 offset1:140
	v_pack_b32_f16 v1, v2, v8
	v_pack_b32_f16 v5, v13, v20
	ds_write2_b32 v47, v4, v1 offset0:118 offset1:172
	v_pack_b32_f16 v1, v11, v23
	v_pack_b32_f16 v2, v3, v6
	;; [unrolled: 1-line block ×3, first 2 shown]
	ds_write2_b32 v60, v5, v1 offset0:108 offset1:162
	v_pack_b32_f16 v1, v24, v25
	ds_write_b32 v60, v3 offset:864
	v_pack_b32_f16 v3, v32, v33
	v_pack_b32_f16 v0, v0, v7
	ds_write2_b32 v42, v1, v3 offset0:194 offset1:248
	ds_write2_b32 v48, v2, v0 offset0:98 offset1:152
	s_and_saveexec_b64 s[2:3], s[0:1]
	s_cbranch_execz .LBB0_29
; %bb.28:
	v_mul_f16_sdwa v0, v31, v44 dst_sel:DWORD dst_unused:UNUSED_PAD src0_sel:WORD_1 src1_sel:DWORD
	v_mul_f16_sdwa v1, v30, v43 dst_sel:DWORD dst_unused:UNUSED_PAD src0_sel:WORD_1 src1_sel:DWORD
	;; [unrolled: 1-line block ×4, first 2 shown]
	v_fma_f16 v0, v31, v46, -v0
	v_fma_f16 v1, v30, v45, -v1
	v_fma_f16 v3, v30, v43, v3
	v_fma_f16 v5, v31, v44, v5
	v_add_f16_e32 v2, v1, v15
	v_add_f16_e32 v4, v3, v14
	;; [unrolled: 1-line block ×3, first 2 shown]
	v_sub_f16_e32 v7, v3, v5
	v_add_f16_e32 v3, v3, v5
	v_add_f16_e32 v2, v0, v2
	v_fma_f16 v6, v6, -0.5, v15
	v_fma_f16 v3, v3, -0.5, v14
	v_sub_f16_e32 v0, v1, v0
	v_fma_f16 v8, v7, s4, v6
	v_fma_f16 v6, v7, s5, v6
	;; [unrolled: 1-line block ×4, first 2 shown]
	v_add_f16_e32 v4, v4, v5
	v_pack_b32_f16 v0, v0, v6
	v_pack_b32_f16 v2, v4, v2
	ds_write_b32 v60, v0 offset:2232
	v_pack_b32_f16 v0, v1, v8
	ds_write_b32 v60, v2 offset:1080
	ds_write_b32 v60, v0 offset:3384
.LBB0_29:
	s_or_b64 exec, exec, s[2:3]
	s_waitcnt lgkmcnt(0)
	; wave barrier
	s_waitcnt lgkmcnt(0)
	ds_read2_b32 v[3:4], v60 offset1:54
	s_mov_b32 s12, 0xbda12f68
	s_mov_b32 s13, 0x3f52f684
	v_mad_u64_u32 v[5:6], s[2:3], s10, v29, 0
	s_waitcnt lgkmcnt(0)
	v_lshrrev_b32_e32 v8, 16, v3
	v_mul_f16_sdwa v0, v77, v8 dst_sel:DWORD dst_unused:UNUSED_PAD src0_sel:WORD_1 src1_sel:DWORD
	v_fma_f16 v0, v77, v3, v0
	v_cvt_f32_f16_e32 v0, v0
	s_movk_i32 s15, 0x1ff
	v_mov_b32_e32 v2, v6
	v_mad_u64_u32 v[6:7], s[2:3], s11, v29, v[2:3]
	v_cvt_f64_f32_e32 v[0:1], v0
	s_movk_i32 s10, 0xffe
	v_mul_f16_sdwa v3, v77, v3 dst_sel:DWORD dst_unused:UNUSED_PAD src0_sel:WORD_1 src1_sel:DWORD
	v_fma_f16 v3, v77, v8, -v3
	v_mul_f64 v[0:1], v[0:1], s[12:13]
	v_cvt_f32_f16_e32 v3, v3
	s_movk_i32 s11, 0x40f
	s_mov_b32 s14, 0x8000
	v_lshlrev_b64 v[5:6], 2, v[5:6]
	v_and_or_b32 v0, v1, s15, v0
	v_cmp_ne_u32_e32 vcc, 0, v0
	v_lshrrev_b32_e32 v2, 8, v1
	v_bfe_u32 v7, v1, 20, 11
	v_cndmask_b32_e64 v0, 0, 1, vcc
	v_sub_u32_e32 v9, 0x3f1, v7
	v_and_or_b32 v0, v2, s10, v0
	v_med3_i32 v2, v9, 0, 13
	v_or_b32_e32 v9, 0x1000, v0
	v_lshrrev_b32_e32 v10, v2, v9
	v_lshlrev_b32_e32 v2, v2, v10
	v_cmp_ne_u32_e32 vcc, v2, v9
	v_cndmask_b32_e64 v2, 0, 1, vcc
	v_add_u32_e32 v9, 0xfffffc10, v7
	v_or_b32_e32 v2, v10, v2
	v_lshl_or_b32 v7, v9, 12, v0
	v_cmp_gt_i32_e32 vcc, 1, v9
	v_cndmask_b32_e32 v2, v7, v2, vcc
	v_and_b32_e32 v7, 7, v2
	v_cmp_lt_i32_e32 vcc, 5, v7
	v_cmp_eq_u32_e64 s[2:3], 3, v7
	v_cvt_f64_f32_e32 v[7:8], v3
	v_lshrrev_b32_e32 v2, 2, v2
	s_or_b64 vcc, s[2:3], vcc
	v_addc_co_u32_e32 v10, vcc, 0, v2, vcc
	v_mul_f64 v[7:8], v[7:8], s[12:13]
	v_mov_b32_e32 v2, 0x7c00
	v_cmp_gt_i32_e32 vcc, 31, v9
	v_cndmask_b32_e32 v3, v2, v10, vcc
	v_cmp_ne_u32_e32 vcc, 0, v0
	v_cndmask_b32_e64 v0, 0, 1, vcc
	v_lshl_or_b32 v0, v0, 9, v2
	v_cmp_eq_u32_e32 vcc, s11, v9
	v_cndmask_b32_e32 v0, v3, v0, vcc
	v_lshrrev_b32_e32 v1, 16, v1
	v_and_or_b32 v11, v1, s14, v0
	v_and_or_b32 v0, v8, s15, v7
	v_cmp_ne_u32_e32 vcc, 0, v0
	v_cndmask_b32_e64 v0, 0, 1, vcc
	v_lshrrev_b32_e32 v1, 8, v8
	v_bfe_u32 v3, v8, 20, 11
	v_and_or_b32 v0, v1, s10, v0
	v_sub_u32_e32 v7, 0x3f1, v3
	v_or_b32_e32 v1, 0x1000, v0
	v_med3_i32 v7, v7, 0, 13
	v_lshrrev_b32_e32 v9, v7, v1
	v_lshlrev_b32_e32 v7, v7, v9
	v_cmp_ne_u32_e32 vcc, v7, v1
	v_cndmask_b32_e64 v1, 0, 1, vcc
	v_add_u32_e32 v3, 0xfffffc10, v3
	v_or_b32_e32 v1, v9, v1
	v_lshl_or_b32 v7, v3, 12, v0
	v_cmp_gt_i32_e32 vcc, 1, v3
	v_cndmask_b32_e32 v1, v7, v1, vcc
	v_and_b32_e32 v7, 7, v1
	v_cmp_lt_i32_e32 vcc, 5, v7
	v_cmp_eq_u32_e64 s[2:3], 3, v7
	v_lshrrev_b32_e32 v1, 2, v1
	s_or_b64 vcc, s[2:3], vcc
	v_addc_co_u32_e32 v1, vcc, 0, v1, vcc
	v_cmp_gt_i32_e32 vcc, 31, v3
	v_cndmask_b32_e32 v1, v2, v1, vcc
	v_cmp_ne_u32_e32 vcc, 0, v0
	v_cndmask_b32_e64 v0, 0, 1, vcc
	v_lshl_or_b32 v0, v0, 9, v2
	v_cmp_eq_u32_e32 vcc, s11, v3
	v_cndmask_b32_e32 v12, v1, v0, vcc
	v_add_u32_e32 v0, 0x200, v60
	v_mad_u64_u32 v[9:10], s[2:3], s8, v75, 0
	ds_read2_b32 v[0:1], v0 offset0:88 offset1:160
	v_lshrrev_b32_e32 v13, 16, v8
	v_mov_b32_e32 v3, v10
	v_mad_u64_u32 v[7:8], s[2:3], s9, v75, v[3:4]
	s_waitcnt lgkmcnt(0)
	v_lshrrev_b32_e32 v3, 16, v1
	v_mul_f16_sdwa v8, v76, v3 dst_sel:DWORD dst_unused:UNUSED_PAD src0_sel:WORD_1 src1_sel:DWORD
	v_fma_f16 v8, v76, v1, v8
	v_cvt_f32_f16_e32 v8, v8
	v_mov_b32_e32 v10, v7
	v_and_or_b32 v12, v13, s14, v12
	v_and_b32_e32 v11, 0xffff, v11
	v_cvt_f64_f32_e32 v[7:8], v8
	v_lshl_or_b32 v11, v12, 16, v11
	v_mov_b32_e32 v12, s7
	v_add_co_u32_e32 v13, vcc, s6, v5
	v_mul_f64 v[7:8], v[7:8], s[12:13]
	v_addc_co_u32_e32 v14, vcc, v12, v6, vcc
	v_lshlrev_b64 v[5:6], 2, v[9:10]
	v_mul_f16_sdwa v1, v76, v1 dst_sel:DWORD dst_unused:UNUSED_PAD src0_sel:WORD_1 src1_sel:DWORD
	v_add_co_u32_e32 v5, vcc, v13, v5
	v_addc_co_u32_e32 v6, vcc, v14, v6, vcc
	v_and_or_b32 v7, v8, s15, v7
	v_cmp_ne_u32_e32 vcc, 0, v7
	v_cndmask_b32_e64 v7, 0, 1, vcc
	v_lshrrev_b32_e32 v9, 8, v8
	v_bfe_u32 v10, v8, 20, 11
	global_store_dword v[5:6], v11, off
	v_and_or_b32 v7, v9, s10, v7
	v_sub_u32_e32 v11, 0x3f1, v10
	v_or_b32_e32 v9, 0x1000, v7
	v_med3_i32 v11, v11, 0, 13
	v_lshrrev_b32_e32 v12, v11, v9
	v_lshlrev_b32_e32 v11, v11, v12
	v_cmp_ne_u32_e32 vcc, v11, v9
	v_fma_f16 v1, v76, v3, -v1
	v_cndmask_b32_e64 v9, 0, 1, vcc
	v_add_u32_e32 v11, 0xfffffc10, v10
	v_cvt_f32_f16_e32 v1, v1
	v_or_b32_e32 v9, v12, v9
	v_lshl_or_b32 v10, v11, 12, v7
	v_cmp_gt_i32_e32 vcc, 1, v11
	v_cndmask_b32_e32 v9, v10, v9, vcc
	v_and_b32_e32 v10, 7, v9
	v_cmp_lt_i32_e32 vcc, 5, v10
	v_cmp_eq_u32_e64 s[2:3], 3, v10
	v_lshrrev_b32_e32 v3, 2, v9
	v_cvt_f64_f32_e32 v[9:10], v1
	s_or_b64 vcc, s[2:3], vcc
	v_addc_co_u32_e32 v1, vcc, 0, v3, vcc
	v_mul_f64 v[9:10], v[9:10], s[12:13]
	v_cmp_gt_i32_e32 vcc, 31, v11
	v_cndmask_b32_e32 v1, v2, v1, vcc
	v_cmp_ne_u32_e32 vcc, 0, v7
	v_cndmask_b32_e64 v3, 0, 1, vcc
	v_lshl_or_b32 v3, v3, 9, v2
	v_cmp_eq_u32_e32 vcc, s11, v11
	v_cndmask_b32_e32 v1, v1, v3, vcc
	v_lshrrev_b32_e32 v3, 16, v8
	v_and_or_b32 v1, v3, s14, v1
	v_and_or_b32 v3, v10, s15, v9
	v_cmp_ne_u32_e32 vcc, 0, v3
	v_cndmask_b32_e64 v3, 0, 1, vcc
	v_lshrrev_b32_e32 v7, 8, v10
	v_bfe_u32 v8, v10, 20, 11
	v_and_or_b32 v3, v7, s10, v3
	v_sub_u32_e32 v9, 0x3f1, v8
	v_or_b32_e32 v7, 0x1000, v3
	v_med3_i32 v9, v9, 0, 13
	v_lshrrev_b32_e32 v11, v9, v7
	v_lshlrev_b32_e32 v9, v9, v11
	v_cmp_ne_u32_e32 vcc, v9, v7
	v_cndmask_b32_e64 v7, 0, 1, vcc
	v_add_u32_e32 v9, 0xfffffc10, v8
	v_or_b32_e32 v7, v11, v7
	v_lshl_or_b32 v8, v9, 12, v3
	v_cmp_gt_i32_e32 vcc, 1, v9
	v_cndmask_b32_e32 v7, v8, v7, vcc
	v_and_b32_e32 v8, 7, v7
	v_cmp_lt_i32_e32 vcc, 5, v8
	v_cmp_eq_u32_e64 s[2:3], 3, v8
	v_lshrrev_b32_e32 v7, 2, v7
	s_or_b64 vcc, s[2:3], vcc
	v_addc_co_u32_e32 v7, vcc, 0, v7, vcc
	v_cmp_gt_i32_e32 vcc, 31, v9
	v_cndmask_b32_e32 v11, v2, v7, vcc
	v_cmp_ne_u32_e32 vcc, 0, v3
	v_cndmask_b32_e64 v3, 0, 1, vcc
	v_lshl_or_b32 v12, v3, 9, v2
	v_add_u32_e32 v3, 0x800, v60
	ds_read2_b32 v[7:8], v3 offset0:64 offset1:118
	v_cmp_eq_u32_e32 vcc, s11, v9
	v_cndmask_b32_e32 v9, v11, v12, vcc
	v_lshrrev_b32_e32 v10, 16, v10
	v_and_or_b32 v11, v10, s14, v9
	s_waitcnt lgkmcnt(0)
	v_lshrrev_b32_e32 v12, 16, v7
	v_mul_f16_sdwa v9, v74, v12 dst_sel:DWORD dst_unused:UNUSED_PAD src0_sel:WORD_1 src1_sel:DWORD
	v_fma_f16 v9, v74, v7, v9
	v_cvt_f32_f16_e32 v9, v9
	s_mul_i32 s2, s9, 0x120
	s_mul_hi_u32 s3, s8, 0x120
	s_add_i32 s3, s3, s2
	v_cvt_f64_f32_e32 v[9:10], v9
	s_mul_i32 s2, s8, 0x120
	v_and_b32_e32 v1, 0xffff, v1
	s_lshl_b64 s[6:7], s[2:3], 2
	v_mul_f64 v[9:10], v[9:10], s[12:13]
	v_lshl_or_b32 v11, v11, 16, v1
	v_mov_b32_e32 v1, s7
	v_add_co_u32_e32 v5, vcc, s6, v5
	v_addc_co_u32_e32 v6, vcc, v6, v1, vcc
	global_store_dword v[5:6], v11, off
	v_and_or_b32 v9, v10, s15, v9
	v_cmp_ne_u32_e32 vcc, 0, v9
	v_cndmask_b32_e64 v9, 0, 1, vcc
	v_lshrrev_b32_e32 v11, 8, v10
	v_bfe_u32 v15, v10, 20, 11
	v_and_or_b32 v9, v11, s10, v9
	v_sub_u32_e32 v16, 0x3f1, v15
	v_or_b32_e32 v11, 0x1000, v9
	v_med3_i32 v16, v16, 0, 13
	v_lshrrev_b32_e32 v17, v16, v11
	v_lshlrev_b32_e32 v16, v16, v17
	v_mul_f16_sdwa v7, v74, v7 dst_sel:DWORD dst_unused:UNUSED_PAD src0_sel:WORD_1 src1_sel:DWORD
	v_cmp_ne_u32_e32 vcc, v16, v11
	v_fma_f16 v7, v74, v12, -v7
	v_cndmask_b32_e64 v11, 0, 1, vcc
	v_add_u32_e32 v15, 0xfffffc10, v15
	v_cvt_f32_f16_e32 v7, v7
	v_or_b32_e32 v11, v17, v11
	v_lshl_or_b32 v16, v15, 12, v9
	v_cmp_gt_i32_e32 vcc, 1, v15
	v_cndmask_b32_e32 v11, v16, v11, vcc
	v_and_b32_e32 v16, 7, v11
	v_cmp_lt_i32_e32 vcc, 5, v16
	v_cmp_eq_u32_e64 s[2:3], 3, v16
	v_lshrrev_b32_e32 v16, 2, v11
	v_cvt_f64_f32_e32 v[11:12], v7
	s_or_b64 vcc, s[2:3], vcc
	v_addc_co_u32_e32 v7, vcc, 0, v16, vcc
	v_mul_f64 v[11:12], v[11:12], s[12:13]
	v_cmp_gt_i32_e32 vcc, 31, v15
	v_cndmask_b32_e32 v7, v2, v7, vcc
	v_cmp_ne_u32_e32 vcc, 0, v9
	v_cndmask_b32_e64 v9, 0, 1, vcc
	v_lshl_or_b32 v9, v9, 9, v2
	v_cmp_eq_u32_e32 vcc, s11, v15
	v_cndmask_b32_e32 v7, v7, v9, vcc
	v_lshrrev_b32_e32 v9, 16, v10
	v_and_or_b32 v15, v9, s14, v7
	v_and_or_b32 v7, v12, s15, v11
	v_cmp_ne_u32_e32 vcc, 0, v7
	v_cndmask_b32_e64 v7, 0, 1, vcc
	v_lshrrev_b32_e32 v9, 8, v12
	v_bfe_u32 v10, v12, 20, 11
	v_and_or_b32 v7, v9, s10, v7
	v_sub_u32_e32 v11, 0x3f1, v10
	v_or_b32_e32 v9, 0x1000, v7
	v_med3_i32 v11, v11, 0, 13
	v_lshrrev_b32_e32 v16, v11, v9
	v_lshlrev_b32_e32 v11, v11, v16
	v_cmp_ne_u32_e32 vcc, v11, v9
	v_cndmask_b32_e64 v9, 0, 1, vcc
	v_add_u32_e32 v11, 0xfffffc10, v10
	v_or_b32_e32 v9, v16, v9
	v_lshl_or_b32 v10, v11, 12, v7
	v_cmp_gt_i32_e32 vcc, 1, v11
	v_cndmask_b32_e32 v9, v10, v9, vcc
	v_and_b32_e32 v10, 7, v9
	v_cmp_lt_i32_e32 vcc, 5, v10
	v_cmp_eq_u32_e64 s[2:3], 3, v10
	v_lshrrev_b32_e32 v9, 2, v9
	s_or_b64 vcc, s[2:3], vcc
	v_addc_co_u32_e32 v9, vcc, 0, v9, vcc
	v_cmp_gt_i32_e32 vcc, 31, v11
	v_cndmask_b32_e32 v16, v2, v9, vcc
	v_mad_u64_u32 v[9:10], s[2:3], s8, v72, 0
	v_cmp_ne_u32_e32 vcc, 0, v7
	v_cndmask_b32_e64 v7, 0, 1, vcc
	v_lshl_or_b32 v7, v7, 9, v2
	v_cmp_eq_u32_e32 vcc, s11, v11
	v_lshrrev_b32_e32 v17, 16, v4
	v_cndmask_b32_e32 v16, v16, v7, vcc
	v_mov_b32_e32 v7, v10
	v_mul_f16_sdwa v10, v73, v17 dst_sel:DWORD dst_unused:UNUSED_PAD src0_sel:WORD_1 src1_sel:DWORD
	v_fma_f16 v10, v73, v4, v10
	v_cvt_f32_f16_e32 v18, v10
	v_mad_u64_u32 v[10:11], s[2:3], s9, v72, v[7:8]
	v_lshrrev_b32_e32 v7, 16, v12
	v_cvt_f64_f32_e32 v[11:12], v18
	v_lshlrev_b64 v[9:10], 2, v[9:10]
	v_and_or_b32 v7, v7, s14, v16
	v_and_b32_e32 v15, 0xffff, v15
	v_mul_f64 v[11:12], v[11:12], s[12:13]
	v_add_co_u32_e32 v9, vcc, v13, v9
	v_lshl_or_b32 v7, v7, 16, v15
	v_addc_co_u32_e32 v10, vcc, v14, v10, vcc
	global_store_dword v[9:10], v7, off
	v_mul_f16_sdwa v4, v73, v4 dst_sel:DWORD dst_unused:UNUSED_PAD src0_sel:WORD_1 src1_sel:DWORD
	v_and_or_b32 v7, v12, s15, v11
	v_cmp_ne_u32_e32 vcc, 0, v7
	v_cndmask_b32_e64 v7, 0, 1, vcc
	v_lshrrev_b32_e32 v9, 8, v12
	v_bfe_u32 v10, v12, 20, 11
	v_and_or_b32 v7, v9, s10, v7
	v_sub_u32_e32 v11, 0x3f1, v10
	v_or_b32_e32 v9, 0x1000, v7
	v_med3_i32 v11, v11, 0, 13
	v_lshrrev_b32_e32 v13, v11, v9
	v_lshlrev_b32_e32 v11, v11, v13
	v_cmp_ne_u32_e32 vcc, v11, v9
	v_fma_f16 v4, v73, v17, -v4
	v_cndmask_b32_e64 v9, 0, 1, vcc
	v_add_u32_e32 v11, 0xfffffc10, v10
	v_cvt_f32_f16_e32 v4, v4
	v_or_b32_e32 v9, v13, v9
	v_lshl_or_b32 v10, v11, 12, v7
	v_cmp_gt_i32_e32 vcc, 1, v11
	v_cndmask_b32_e32 v9, v10, v9, vcc
	v_and_b32_e32 v10, 7, v9
	v_cmp_lt_i32_e32 vcc, 5, v10
	v_cmp_eq_u32_e64 s[2:3], 3, v10
	v_lshrrev_b32_e32 v13, 2, v9
	v_cvt_f64_f32_e32 v[9:10], v4
	s_or_b64 vcc, s[2:3], vcc
	v_addc_co_u32_e32 v4, vcc, 0, v13, vcc
	v_mul_f64 v[9:10], v[9:10], s[12:13]
	v_cmp_gt_i32_e32 vcc, 31, v11
	v_cndmask_b32_e32 v4, v2, v4, vcc
	v_cmp_ne_u32_e32 vcc, 0, v7
	v_cndmask_b32_e64 v7, 0, 1, vcc
	v_lshl_or_b32 v7, v7, 9, v2
	v_cmp_eq_u32_e32 vcc, s11, v11
	v_cndmask_b32_e32 v4, v4, v7, vcc
	v_lshrrev_b32_e32 v7, 16, v12
	v_and_or_b32 v7, v7, s14, v4
	v_and_or_b32 v4, v10, s15, v9
	v_cmp_ne_u32_e32 vcc, 0, v4
	v_cndmask_b32_e64 v4, 0, 1, vcc
	v_lshrrev_b32_e32 v9, 8, v10
	v_bfe_u32 v11, v10, 20, 11
	v_and_or_b32 v9, v9, s10, v4
	v_sub_u32_e32 v12, 0x3f1, v11
	v_or_b32_e32 v4, 0x1000, v9
	v_med3_i32 v12, v12, 0, 13
	v_lshrrev_b32_e32 v13, v12, v4
	v_lshlrev_b32_e32 v12, v12, v13
	v_cmp_ne_u32_e32 vcc, v12, v4
	v_cndmask_b32_e64 v4, 0, 1, vcc
	v_or_b32_e32 v4, v13, v4
	v_add_u32_e32 v13, 0xfffffc10, v11
	v_lshl_or_b32 v11, v13, 12, v9
	v_cmp_gt_i32_e32 vcc, 1, v13
	v_cndmask_b32_e32 v4, v11, v4, vcc
	v_and_b32_e32 v11, 7, v4
	v_cmp_lt_i32_e32 vcc, 5, v11
	v_cmp_eq_u32_e64 s[2:3], 3, v11
	v_lshrrev_b32_e32 v4, 2, v4
	s_or_b64 vcc, s[2:3], vcc
	v_addc_co_u32_e32 v14, vcc, 0, v4, vcc
	v_add_u32_e32 v4, 0x400, v60
	ds_read2_b32 v[11:12], v4 offset0:86 offset1:140
	v_cmp_gt_i32_e32 vcc, 31, v13
	v_cndmask_b32_e32 v14, v2, v14, vcc
	v_cmp_ne_u32_e32 vcc, 0, v9
	v_cndmask_b32_e64 v9, 0, 1, vcc
	s_waitcnt lgkmcnt(0)
	v_lshrrev_b32_e32 v15, 16, v11
	v_mul_f16_sdwa v16, v71, v15 dst_sel:DWORD dst_unused:UNUSED_PAD src0_sel:WORD_1 src1_sel:DWORD
	v_fma_f16 v16, v71, v11, v16
	v_cvt_f32_f16_e32 v16, v16
	v_lshl_or_b32 v9, v9, 9, v2
	v_cmp_eq_u32_e32 vcc, s11, v13
	v_cndmask_b32_e32 v13, v14, v9, vcc
	v_lshrrev_b32_e32 v14, 16, v10
	v_cvt_f64_f32_e32 v[9:10], v16
	v_and_or_b32 v13, v14, s14, v13
	v_mov_b32_e32 v14, 0xfffffc58
	v_mad_u64_u32 v[5:6], s[2:3], s8, v14, v[5:6]
	v_mul_f64 v[9:10], v[9:10], s[12:13]
	s_mul_i32 s2, s9, 0xfffffc58
	v_and_b32_e32 v7, 0xffff, v7
	s_sub_i32 s2, s2, s8
	v_lshl_or_b32 v7, v13, 16, v7
	v_add_u32_e32 v6, s2, v6
	global_store_dword v[5:6], v7, off
	v_mul_f16_sdwa v11, v71, v11 dst_sel:DWORD dst_unused:UNUSED_PAD src0_sel:WORD_1 src1_sel:DWORD
	v_and_or_b32 v7, v10, s15, v9
	v_cmp_ne_u32_e32 vcc, 0, v7
	v_cndmask_b32_e64 v7, 0, 1, vcc
	v_lshrrev_b32_e32 v9, 8, v10
	v_bfe_u32 v13, v10, 20, 11
	v_and_or_b32 v7, v9, s10, v7
	v_sub_u32_e32 v14, 0x3f1, v13
	v_or_b32_e32 v9, 0x1000, v7
	v_med3_i32 v14, v14, 0, 13
	v_lshrrev_b32_e32 v16, v14, v9
	v_lshlrev_b32_e32 v14, v14, v16
	v_cmp_ne_u32_e32 vcc, v14, v9
	v_cndmask_b32_e64 v9, 0, 1, vcc
	v_fma_f16 v11, v71, v15, -v11
	v_or_b32_e32 v9, v16, v9
	v_add_u32_e32 v16, 0xfffffc10, v13
	v_cvt_f32_f16_e32 v11, v11
	v_lshl_or_b32 v13, v16, 12, v7
	v_cmp_gt_i32_e32 vcc, 1, v16
	v_cndmask_b32_e32 v9, v13, v9, vcc
	v_and_b32_e32 v13, 7, v9
	v_cmp_lt_i32_e32 vcc, 5, v13
	v_cmp_eq_u32_e64 s[2:3], 3, v13
	v_cvt_f64_f32_e32 v[13:14], v11
	v_lshrrev_b32_e32 v9, 2, v9
	s_or_b64 vcc, s[2:3], vcc
	v_addc_co_u32_e32 v9, vcc, 0, v9, vcc
	v_mul_f64 v[13:14], v[13:14], s[12:13]
	v_cmp_gt_i32_e32 vcc, 31, v16
	v_cndmask_b32_e32 v9, v2, v9, vcc
	v_cmp_ne_u32_e32 vcc, 0, v7
	v_cndmask_b32_e64 v7, 0, 1, vcc
	v_lshl_or_b32 v7, v7, 9, v2
	v_cmp_eq_u32_e32 vcc, s11, v16
	v_cndmask_b32_e32 v7, v9, v7, vcc
	v_lshrrev_b32_e32 v9, 16, v10
	v_and_or_b32 v7, v9, s14, v7
	v_and_or_b32 v9, v14, s15, v13
	v_cmp_ne_u32_e32 vcc, 0, v9
	v_cndmask_b32_e64 v9, 0, 1, vcc
	v_lshrrev_b32_e32 v10, 8, v14
	v_bfe_u32 v11, v14, 20, 11
	v_and_or_b32 v9, v10, s10, v9
	v_sub_u32_e32 v13, 0x3f1, v11
	v_or_b32_e32 v10, 0x1000, v9
	v_med3_i32 v13, v13, 0, 13
	v_lshrrev_b32_e32 v15, v13, v10
	v_lshlrev_b32_e32 v13, v13, v15
	v_cmp_ne_u32_e32 vcc, v13, v10
	v_cndmask_b32_e64 v10, 0, 1, vcc
	v_add_u32_e32 v11, 0xfffffc10, v11
	v_or_b32_e32 v10, v15, v10
	v_lshl_or_b32 v13, v11, 12, v9
	v_cmp_gt_i32_e32 vcc, 1, v11
	v_cndmask_b32_e32 v10, v13, v10, vcc
	v_and_b32_e32 v13, 7, v10
	v_cmp_lt_i32_e32 vcc, 5, v13
	v_cmp_eq_u32_e64 s[2:3], 3, v13
	v_lshrrev_b32_e32 v10, 2, v10
	s_or_b64 vcc, s[2:3], vcc
	v_addc_co_u32_e32 v10, vcc, 0, v10, vcc
	v_cmp_gt_i32_e32 vcc, 31, v11
	v_lshrrev_b32_e32 v15, 16, v8
	v_cndmask_b32_e32 v13, v2, v10, vcc
	v_mul_f16_sdwa v10, v70, v15 dst_sel:DWORD dst_unused:UNUSED_PAD src0_sel:WORD_1 src1_sel:DWORD
	v_fma_f16 v10, v70, v8, v10
	v_cvt_f32_f16_e32 v10, v10
	v_cmp_ne_u32_e32 vcc, 0, v9
	v_cndmask_b32_e64 v9, 0, 1, vcc
	v_lshl_or_b32 v16, v9, 9, v2
	v_cvt_f64_f32_e32 v[9:10], v10
	v_cmp_eq_u32_e32 vcc, s11, v11
	v_cndmask_b32_e32 v11, v13, v16, vcc
	v_lshrrev_b32_e32 v13, 16, v14
	v_mul_f64 v[9:10], v[9:10], s[12:13]
	v_and_or_b32 v11, v13, s14, v11
	v_and_b32_e32 v7, 0xffff, v7
	v_add_co_u32_e32 v5, vcc, s6, v5
	v_lshl_or_b32 v7, v11, 16, v7
	v_addc_co_u32_e32 v6, vcc, v6, v1, vcc
	global_store_dword v[5:6], v7, off
	v_and_or_b32 v7, v10, s15, v9
	v_cmp_ne_u32_e32 vcc, 0, v7
	v_cndmask_b32_e64 v7, 0, 1, vcc
	v_lshrrev_b32_e32 v9, 8, v10
	v_bfe_u32 v11, v10, 20, 11
	v_and_or_b32 v9, v9, s10, v7
	v_sub_u32_e32 v13, 0x3f1, v11
	v_or_b32_e32 v7, 0x1000, v9
	v_med3_i32 v13, v13, 0, 13
	v_lshrrev_b32_e32 v14, v13, v7
	v_lshlrev_b32_e32 v13, v13, v14
	v_mul_f16_sdwa v8, v70, v8 dst_sel:DWORD dst_unused:UNUSED_PAD src0_sel:WORD_1 src1_sel:DWORD
	v_cmp_ne_u32_e32 vcc, v13, v7
	v_fma_f16 v8, v70, v15, -v8
	v_cndmask_b32_e64 v7, 0, 1, vcc
	v_add_u32_e32 v11, 0xfffffc10, v11
	v_cvt_f32_f16_e32 v8, v8
	v_or_b32_e32 v7, v14, v7
	v_lshl_or_b32 v13, v11, 12, v9
	v_cmp_gt_i32_e32 vcc, 1, v11
	v_cndmask_b32_e32 v7, v13, v7, vcc
	v_and_b32_e32 v13, 7, v7
	v_cmp_lt_i32_e32 vcc, 5, v13
	v_cmp_eq_u32_e64 s[2:3], 3, v13
	v_lshrrev_b32_e32 v13, 2, v7
	v_cvt_f64_f32_e32 v[7:8], v8
	s_or_b64 vcc, s[2:3], vcc
	v_addc_co_u32_e32 v13, vcc, 0, v13, vcc
	v_mul_f64 v[7:8], v[7:8], s[12:13]
	v_cmp_gt_i32_e32 vcc, 31, v11
	v_cndmask_b32_e32 v13, v2, v13, vcc
	v_cmp_ne_u32_e32 vcc, 0, v9
	v_cndmask_b32_e64 v9, 0, 1, vcc
	v_lshl_or_b32 v9, v9, 9, v2
	v_cmp_eq_u32_e32 vcc, s11, v11
	v_cndmask_b32_e32 v9, v13, v9, vcc
	v_and_or_b32 v7, v8, s15, v7
	v_lshrrev_b32_e32 v10, 16, v10
	v_cmp_ne_u32_e32 vcc, 0, v7
	v_and_or_b32 v11, v10, s14, v9
	v_cndmask_b32_e64 v7, 0, 1, vcc
	v_lshrrev_b32_e32 v9, 8, v8
	v_bfe_u32 v10, v8, 20, 11
	v_and_or_b32 v7, v9, s10, v7
	v_sub_u32_e32 v13, 0x3f1, v10
	v_or_b32_e32 v9, 0x1000, v7
	v_med3_i32 v13, v13, 0, 13
	v_lshrrev_b32_e32 v14, v13, v9
	v_lshlrev_b32_e32 v13, v13, v14
	v_cmp_ne_u32_e32 vcc, v13, v9
	v_cndmask_b32_e64 v9, 0, 1, vcc
	v_add_u32_e32 v15, 0xfffffc10, v10
	v_or_b32_e32 v9, v14, v9
	v_lshl_or_b32 v10, v15, 12, v7
	v_cmp_gt_i32_e32 vcc, 1, v15
	v_cndmask_b32_e32 v9, v10, v9, vcc
	v_and_b32_e32 v10, 7, v9
	v_cmp_lt_i32_e32 vcc, 5, v10
	v_cmp_eq_u32_e64 s[2:3], 3, v10
	v_lshrrev_b32_e32 v13, 2, v9
	ds_read2_b32 v[9:10], v60 offset0:108 offset1:162
	s_or_b64 vcc, s[2:3], vcc
	v_addc_co_u32_e32 v13, vcc, 0, v13, vcc
	v_cmp_gt_i32_e32 vcc, 31, v15
	s_waitcnt lgkmcnt(0)
	v_lshrrev_b32_e32 v17, 16, v9
	v_cndmask_b32_e32 v16, v2, v13, vcc
	v_mul_f16_sdwa v13, v69, v17 dst_sel:DWORD dst_unused:UNUSED_PAD src0_sel:WORD_1 src1_sel:DWORD
	v_fma_f16 v13, v69, v9, v13
	v_cvt_f32_f16_e32 v13, v13
	v_cmp_ne_u32_e32 vcc, 0, v7
	v_cndmask_b32_e64 v7, 0, 1, vcc
	v_lshl_or_b32 v7, v7, 9, v2
	v_cvt_f64_f32_e32 v[13:14], v13
	v_cmp_eq_u32_e32 vcc, s11, v15
	v_cndmask_b32_e32 v7, v16, v7, vcc
	v_lshrrev_b32_e32 v8, 16, v8
	v_and_or_b32 v15, v8, s14, v7
	v_mul_f64 v[7:8], v[13:14], s[12:13]
	v_add_co_u32_e32 v13, vcc, s6, v5
	v_addc_co_u32_e32 v14, vcc, v6, v1, vcc
	v_and_b32_e32 v11, 0xffff, v11
	v_lshl_or_b32 v11, v15, 16, v11
	global_store_dword v[13:14], v11, off
	v_and_or_b32 v5, v8, s15, v7
	v_cmp_ne_u32_e32 vcc, 0, v5
	v_cndmask_b32_e64 v5, 0, 1, vcc
	v_lshrrev_b32_e32 v6, 8, v8
	v_and_or_b32 v7, v6, s10, v5
	v_bfe_u32 v6, v8, 20, 11
	v_sub_u32_e32 v11, 0x3f1, v6
	v_or_b32_e32 v5, 0x1000, v7
	v_med3_i32 v11, v11, 0, 13
	v_lshrrev_b32_e32 v15, v11, v5
	v_lshlrev_b32_e32 v11, v11, v15
	v_mul_f16_sdwa v9, v69, v9 dst_sel:DWORD dst_unused:UNUSED_PAD src0_sel:WORD_1 src1_sel:DWORD
	v_cmp_ne_u32_e32 vcc, v11, v5
	v_fma_f16 v9, v69, v17, -v9
	v_cndmask_b32_e64 v5, 0, 1, vcc
	v_add_u32_e32 v11, 0xfffffc10, v6
	v_cvt_f32_f16_e32 v9, v9
	v_or_b32_e32 v5, v15, v5
	v_lshl_or_b32 v6, v11, 12, v7
	v_cmp_gt_i32_e32 vcc, 1, v11
	v_cndmask_b32_e32 v5, v6, v5, vcc
	v_and_b32_e32 v6, 7, v5
	v_cmp_lt_i32_e32 vcc, 5, v6
	v_cmp_eq_u32_e64 s[2:3], 3, v6
	v_lshrrev_b32_e32 v15, 2, v5
	v_cvt_f64_f32_e32 v[5:6], v9
	s_or_b64 vcc, s[2:3], vcc
	v_addc_co_u32_e32 v9, vcc, 0, v15, vcc
	v_mul_f64 v[5:6], v[5:6], s[12:13]
	v_cmp_gt_i32_e32 vcc, 31, v11
	v_cndmask_b32_e32 v9, v2, v9, vcc
	v_cmp_ne_u32_e32 vcc, 0, v7
	v_cndmask_b32_e64 v7, 0, 1, vcc
	v_lshl_or_b32 v7, v7, 9, v2
	v_cmp_eq_u32_e32 vcc, s11, v11
	v_cndmask_b32_e32 v7, v9, v7, vcc
	v_and_or_b32 v5, v6, s15, v5
	v_lshrrev_b32_e32 v8, 16, v8
	v_cmp_ne_u32_e32 vcc, 0, v5
	v_and_or_b32 v7, v8, s14, v7
	v_cndmask_b32_e64 v5, 0, 1, vcc
	v_lshrrev_b32_e32 v8, 8, v6
	v_bfe_u32 v9, v6, 20, 11
	v_and_or_b32 v5, v8, s10, v5
	v_sub_u32_e32 v11, 0x3f1, v9
	v_or_b32_e32 v8, 0x1000, v5
	v_med3_i32 v11, v11, 0, 13
	v_lshrrev_b32_e32 v15, v11, v8
	v_lshlrev_b32_e32 v11, v11, v15
	v_cmp_ne_u32_e32 vcc, v11, v8
	v_cndmask_b32_e64 v8, 0, 1, vcc
	v_add_u32_e32 v9, 0xfffffc10, v9
	v_or_b32_e32 v8, v15, v8
	v_lshl_or_b32 v11, v9, 12, v5
	v_cmp_gt_i32_e32 vcc, 1, v9
	v_cndmask_b32_e32 v8, v11, v8, vcc
	v_and_b32_e32 v11, 7, v8
	v_cmp_lt_i32_e32 vcc, 5, v11
	v_cmp_eq_u32_e64 s[2:3], 3, v11
	v_lshrrev_b32_e32 v8, 2, v8
	s_or_b64 vcc, s[2:3], vcc
	v_addc_co_u32_e32 v8, vcc, 0, v8, vcc
	v_cmp_gt_i32_e32 vcc, 31, v9
	v_cndmask_b32_e32 v8, v2, v8, vcc
	v_cmp_ne_u32_e32 vcc, 0, v5
	v_cndmask_b32_e64 v5, 0, 1, vcc
	v_lshl_or_b32 v5, v5, 9, v2
	v_cmp_eq_u32_e32 vcc, s11, v9
	v_cndmask_b32_e32 v5, v8, v5, vcc
	v_lshrrev_b32_e32 v6, 16, v6
	v_lshrrev_b32_e32 v11, 16, v12
	v_and_or_b32 v8, v6, s14, v5
	v_mul_f16_sdwa v5, v68, v11 dst_sel:DWORD dst_unused:UNUSED_PAD src0_sel:WORD_1 src1_sel:DWORD
	v_fma_f16 v5, v68, v12, v5
	v_cvt_f32_f16_e32 v5, v5
	v_and_b32_e32 v7, 0xffff, v7
	v_lshl_or_b32 v15, v8, 16, v7
	s_mul_hi_u32 s3, s8, 0xfffffdf6
	v_cvt_f64_f32_e32 v[5:6], v5
	s_mul_i32 s2, s9, 0xfffffdf6
	s_sub_i32 s3, s3, s8
	s_add_i32 s3, s3, s2
	v_mul_f64 v[6:7], v[5:6], s[12:13]
	s_mul_i32 s2, s8, 0xfffffdf6
	s_lshl_b64 s[4:5], s[2:3], 2
	v_mov_b32_e32 v5, s5
	v_add_co_u32_e32 v8, vcc, s4, v13
	v_addc_co_u32_e32 v9, vcc, v14, v5, vcc
	v_and_or_b32 v6, v7, s15, v6
	v_cmp_ne_u32_e32 vcc, 0, v6
	v_cndmask_b32_e64 v6, 0, 1, vcc
	v_lshrrev_b32_e32 v13, 8, v7
	v_bfe_u32 v14, v7, 20, 11
	v_mul_f16_sdwa v12, v68, v12 dst_sel:DWORD dst_unused:UNUSED_PAD src0_sel:WORD_1 src1_sel:DWORD
	global_store_dword v[8:9], v15, off
	v_and_or_b32 v6, v13, s10, v6
	v_sub_u32_e32 v15, 0x3f1, v14
	v_fma_f16 v11, v68, v11, -v12
	v_or_b32_e32 v13, 0x1000, v6
	v_med3_i32 v15, v15, 0, 13
	v_cvt_f32_f16_e32 v11, v11
	v_lshrrev_b32_e32 v16, v15, v13
	v_lshlrev_b32_e32 v15, v15, v16
	v_cmp_ne_u32_e32 vcc, v15, v13
	v_cndmask_b32_e64 v13, 0, 1, vcc
	v_add_u32_e32 v14, 0xfffffc10, v14
	v_cvt_f64_f32_e32 v[11:12], v11
	v_or_b32_e32 v13, v16, v13
	v_lshl_or_b32 v15, v14, 12, v6
	v_cmp_gt_i32_e32 vcc, 1, v14
	v_cndmask_b32_e32 v13, v15, v13, vcc
	v_and_b32_e32 v15, 7, v13
	v_cmp_lt_i32_e32 vcc, 5, v15
	v_cmp_eq_u32_e64 s[2:3], 3, v15
	v_mul_f64 v[11:12], v[11:12], s[12:13]
	v_lshrrev_b32_e32 v13, 2, v13
	s_or_b64 vcc, s[2:3], vcc
	v_addc_co_u32_e32 v13, vcc, 0, v13, vcc
	v_cmp_gt_i32_e32 vcc, 31, v14
	v_cndmask_b32_e32 v13, v2, v13, vcc
	v_cmp_ne_u32_e32 vcc, 0, v6
	v_cndmask_b32_e64 v6, 0, 1, vcc
	v_lshl_or_b32 v6, v6, 9, v2
	v_cmp_eq_u32_e32 vcc, s11, v14
	v_cndmask_b32_e32 v6, v13, v6, vcc
	v_lshrrev_b32_e32 v7, 16, v7
	v_and_or_b32 v15, v7, s14, v6
	v_and_or_b32 v6, v12, s15, v11
	v_cmp_ne_u32_e32 vcc, 0, v6
	v_cndmask_b32_e64 v6, 0, 1, vcc
	v_lshrrev_b32_e32 v7, 8, v12
	v_and_or_b32 v11, v7, s10, v6
	v_bfe_u32 v7, v12, 20, 11
	v_sub_u32_e32 v13, 0x3f1, v7
	v_or_b32_e32 v6, 0x1000, v11
	v_med3_i32 v13, v13, 0, 13
	v_lshrrev_b32_e32 v14, v13, v6
	v_lshlrev_b32_e32 v13, v13, v14
	v_cmp_ne_u32_e32 vcc, v13, v6
	v_cndmask_b32_e64 v6, 0, 1, vcc
	v_add_u32_e32 v16, 0xfffffc10, v7
	v_or_b32_e32 v6, v14, v6
	v_lshl_or_b32 v7, v16, 12, v11
	v_cmp_gt_i32_e32 vcc, 1, v16
	v_cndmask_b32_e32 v6, v7, v6, vcc
	v_and_b32_e32 v7, 7, v6
	v_cmp_lt_i32_e32 vcc, 5, v7
	v_cmp_eq_u32_e64 s[2:3], 3, v7
	v_lshrrev_b32_e32 v13, 2, v6
	ds_read2_b32 v[6:7], v3 offset0:172 offset1:226
	s_or_b64 vcc, s[2:3], vcc
	v_addc_co_u32_e32 v3, vcc, 0, v13, vcc
	v_cmp_gt_i32_e32 vcc, 31, v16
	s_waitcnt lgkmcnt(0)
	v_lshrrev_b32_e32 v17, 16, v6
	v_mul_f16_sdwa v13, v67, v17 dst_sel:DWORD dst_unused:UNUSED_PAD src0_sel:WORD_1 src1_sel:DWORD
	v_fma_f16 v13, v67, v6, v13
	v_cvt_f32_f16_e32 v13, v13
	v_cndmask_b32_e32 v3, v2, v3, vcc
	v_cmp_ne_u32_e32 vcc, 0, v11
	v_cndmask_b32_e64 v11, 0, 1, vcc
	v_cvt_f64_f32_e32 v[13:14], v13
	v_lshl_or_b32 v11, v11, 9, v2
	v_cmp_eq_u32_e32 vcc, s11, v16
	v_cndmask_b32_e32 v3, v3, v11, vcc
	v_lshrrev_b32_e32 v11, 16, v12
	v_and_or_b32 v3, v11, s14, v3
	v_mul_f64 v[11:12], v[13:14], s[12:13]
	v_and_b32_e32 v13, 0xffff, v15
	v_add_co_u32_e32 v8, vcc, s6, v8
	v_lshl_or_b32 v3, v3, 16, v13
	v_addc_co_u32_e32 v9, vcc, v9, v1, vcc
	global_store_dword v[8:9], v3, off
	v_and_or_b32 v3, v12, s15, v11
	v_cmp_ne_u32_e32 vcc, 0, v3
	v_cndmask_b32_e64 v3, 0, 1, vcc
	v_lshrrev_b32_e32 v11, 8, v12
	v_bfe_u32 v13, v12, 20, 11
	v_and_or_b32 v3, v11, s10, v3
	v_sub_u32_e32 v14, 0x3f1, v13
	v_or_b32_e32 v11, 0x1000, v3
	v_med3_i32 v14, v14, 0, 13
	v_lshrrev_b32_e32 v15, v14, v11
	v_lshlrev_b32_e32 v14, v14, v15
	v_cmp_ne_u32_e32 vcc, v14, v11
	v_mul_f16_sdwa v6, v67, v6 dst_sel:DWORD dst_unused:UNUSED_PAD src0_sel:WORD_1 src1_sel:DWORD
	v_cndmask_b32_e64 v11, 0, 1, vcc
	v_fma_f16 v6, v67, v17, -v6
	v_or_b32_e32 v11, v15, v11
	v_add_u32_e32 v15, 0xfffffc10, v13
	v_cvt_f32_f16_e32 v6, v6
	v_lshl_or_b32 v13, v15, 12, v3
	v_cmp_gt_i32_e32 vcc, 1, v15
	v_cndmask_b32_e32 v11, v13, v11, vcc
	v_and_b32_e32 v13, 7, v11
	v_cmp_lt_i32_e32 vcc, 5, v13
	v_cmp_eq_u32_e64 s[2:3], 3, v13
	v_cvt_f64_f32_e32 v[13:14], v6
	v_lshrrev_b32_e32 v11, 2, v11
	s_or_b64 vcc, s[2:3], vcc
	v_addc_co_u32_e32 v6, vcc, 0, v11, vcc
	v_mul_f64 v[13:14], v[13:14], s[12:13]
	v_cmp_gt_i32_e32 vcc, 31, v15
	v_cndmask_b32_e32 v6, v2, v6, vcc
	v_cmp_ne_u32_e32 vcc, 0, v3
	v_cndmask_b32_e64 v3, 0, 1, vcc
	v_lshl_or_b32 v3, v3, 9, v2
	v_cmp_eq_u32_e32 vcc, s11, v15
	v_cndmask_b32_e32 v3, v6, v3, vcc
	v_lshrrev_b32_e32 v6, 16, v12
	v_and_or_b32 v3, v6, s14, v3
	v_and_or_b32 v6, v14, s15, v13
	v_cmp_ne_u32_e32 vcc, 0, v6
	v_cndmask_b32_e64 v6, 0, 1, vcc
	v_lshrrev_b32_e32 v11, 8, v14
	v_bfe_u32 v12, v14, 20, 11
	v_and_or_b32 v6, v11, s10, v6
	v_sub_u32_e32 v13, 0x3f1, v12
	v_or_b32_e32 v11, 0x1000, v6
	v_med3_i32 v13, v13, 0, 13
	v_lshrrev_b32_e32 v15, v13, v11
	v_lshlrev_b32_e32 v13, v13, v15
	v_cmp_ne_u32_e32 vcc, v13, v11
	v_cndmask_b32_e64 v11, 0, 1, vcc
	v_add_u32_e32 v13, 0xfffffc10, v12
	v_or_b32_e32 v11, v15, v11
	v_lshl_or_b32 v12, v13, 12, v6
	v_cmp_gt_i32_e32 vcc, 1, v13
	v_cndmask_b32_e32 v11, v12, v11, vcc
	v_and_b32_e32 v12, 7, v11
	v_cmp_lt_i32_e32 vcc, 5, v12
	v_cmp_eq_u32_e64 s[2:3], 3, v12
	v_lshrrev_b32_e32 v11, 2, v11
	s_or_b64 vcc, s[2:3], vcc
	v_addc_co_u32_e32 v11, vcc, 0, v11, vcc
	v_cmp_gt_i32_e32 vcc, 31, v13
	v_lshrrev_b32_e32 v16, 16, v10
	v_cndmask_b32_e32 v15, v2, v11, vcc
	v_mul_f16_sdwa v11, v66, v16 dst_sel:DWORD dst_unused:UNUSED_PAD src0_sel:WORD_1 src1_sel:DWORD
	v_fma_f16 v11, v66, v10, v11
	v_cvt_f32_f16_e32 v11, v11
	v_cmp_ne_u32_e32 vcc, 0, v6
	v_cndmask_b32_e64 v6, 0, 1, vcc
	v_lshl_or_b32 v6, v6, 9, v2
	v_cvt_f64_f32_e32 v[11:12], v11
	v_cmp_eq_u32_e32 vcc, s11, v13
	v_cndmask_b32_e32 v6, v15, v6, vcc
	v_lshrrev_b32_e32 v13, 16, v14
	v_mul_f64 v[11:12], v[11:12], s[12:13]
	v_and_or_b32 v6, v13, s14, v6
	v_and_b32_e32 v3, 0xffff, v3
	v_add_co_u32_e32 v8, vcc, s6, v8
	v_lshl_or_b32 v3, v6, 16, v3
	v_addc_co_u32_e32 v9, vcc, v9, v1, vcc
	global_store_dword v[8:9], v3, off
	v_and_or_b32 v3, v12, s15, v11
	v_cmp_ne_u32_e32 vcc, 0, v3
	v_cndmask_b32_e64 v3, 0, 1, vcc
	v_lshrrev_b32_e32 v6, 8, v12
	v_bfe_u32 v11, v12, 20, 11
	v_and_or_b32 v3, v6, s10, v3
	v_sub_u32_e32 v13, 0x3f1, v11
	v_or_b32_e32 v6, 0x1000, v3
	v_med3_i32 v13, v13, 0, 13
	v_lshrrev_b32_e32 v14, v13, v6
	v_lshlrev_b32_e32 v13, v13, v14
	v_mul_f16_sdwa v10, v66, v10 dst_sel:DWORD dst_unused:UNUSED_PAD src0_sel:WORD_1 src1_sel:DWORD
	v_cmp_ne_u32_e32 vcc, v13, v6
	v_fma_f16 v10, v66, v16, -v10
	v_cndmask_b32_e64 v6, 0, 1, vcc
	v_add_u32_e32 v13, 0xfffffc10, v11
	v_cvt_f32_f16_e32 v10, v10
	v_or_b32_e32 v6, v14, v6
	v_lshl_or_b32 v11, v13, 12, v3
	v_cmp_gt_i32_e32 vcc, 1, v13
	v_cndmask_b32_e32 v6, v11, v6, vcc
	v_and_b32_e32 v11, 7, v6
	v_cmp_lt_i32_e32 vcc, 5, v11
	v_cmp_eq_u32_e64 s[2:3], 3, v11
	v_cvt_f64_f32_e32 v[10:11], v10
	v_lshrrev_b32_e32 v6, 2, v6
	s_or_b64 vcc, s[2:3], vcc
	v_addc_co_u32_e32 v6, vcc, 0, v6, vcc
	v_mul_f64 v[10:11], v[10:11], s[12:13]
	v_cmp_gt_i32_e32 vcc, 31, v13
	v_cndmask_b32_e32 v6, v2, v6, vcc
	v_cmp_ne_u32_e32 vcc, 0, v3
	v_cndmask_b32_e64 v3, 0, 1, vcc
	v_lshl_or_b32 v3, v3, 9, v2
	v_cmp_eq_u32_e32 vcc, s11, v13
	v_cndmask_b32_e32 v3, v6, v3, vcc
	v_lshrrev_b32_e32 v6, 16, v12
	v_and_or_b32 v6, v6, s14, v3
	v_and_or_b32 v3, v11, s15, v10
	v_cmp_ne_u32_e32 vcc, 0, v3
	v_cndmask_b32_e64 v3, 0, 1, vcc
	v_lshrrev_b32_e32 v10, 8, v11
	v_bfe_u32 v12, v11, 20, 11
	v_and_or_b32 v10, v10, s10, v3
	v_sub_u32_e32 v13, 0x3f1, v12
	v_or_b32_e32 v3, 0x1000, v10
	v_med3_i32 v13, v13, 0, 13
	v_lshrrev_b32_e32 v14, v13, v3
	v_lshlrev_b32_e32 v13, v13, v14
	v_cmp_ne_u32_e32 vcc, v13, v3
	v_cndmask_b32_e64 v3, 0, 1, vcc
	v_or_b32_e32 v3, v14, v3
	v_add_u32_e32 v14, 0xfffffc10, v12
	v_lshl_or_b32 v12, v14, 12, v10
	v_cmp_gt_i32_e32 vcc, 1, v14
	v_cndmask_b32_e32 v3, v12, v3, vcc
	v_and_b32_e32 v12, 7, v3
	v_cmp_lt_i32_e32 vcc, 5, v12
	v_cmp_eq_u32_e64 s[2:3], 3, v12
	v_lshrrev_b32_e32 v12, 2, v3
	ds_read2_b32 v[3:4], v4 offset0:194 offset1:248
	s_or_b64 vcc, s[2:3], vcc
	v_addc_co_u32_e32 v12, vcc, 0, v12, vcc
	v_cmp_gt_i32_e32 vcc, 31, v14
	s_waitcnt lgkmcnt(0)
	v_lshrrev_b32_e32 v16, 16, v3
	v_cndmask_b32_e32 v15, v2, v12, vcc
	v_mul_f16_sdwa v12, v65, v16 dst_sel:DWORD dst_unused:UNUSED_PAD src0_sel:WORD_1 src1_sel:DWORD
	v_fma_f16 v12, v65, v3, v12
	v_cvt_f32_f16_e32 v12, v12
	v_cmp_ne_u32_e32 vcc, 0, v10
	v_cndmask_b32_e64 v10, 0, 1, vcc
	v_lshl_or_b32 v10, v10, 9, v2
	v_cvt_f64_f32_e32 v[12:13], v12
	v_cmp_eq_u32_e32 vcc, s11, v14
	v_cndmask_b32_e32 v10, v15, v10, vcc
	v_lshrrev_b32_e32 v11, 16, v11
	v_and_or_b32 v14, v11, s14, v10
	v_mul_f64 v[10:11], v[12:13], s[12:13]
	v_and_b32_e32 v6, 0xffff, v6
	v_add_co_u32_e32 v8, vcc, s4, v8
	v_lshl_or_b32 v6, v14, 16, v6
	v_addc_co_u32_e32 v9, vcc, v9, v5, vcc
	global_store_dword v[8:9], v6, off
	v_and_or_b32 v6, v11, s15, v10
	v_cmp_ne_u32_e32 vcc, 0, v6
	v_cndmask_b32_e64 v6, 0, 1, vcc
	v_lshrrev_b32_e32 v10, 8, v11
	v_bfe_u32 v12, v11, 20, 11
	v_and_or_b32 v6, v10, s10, v6
	v_sub_u32_e32 v13, 0x3f1, v12
	v_or_b32_e32 v10, 0x1000, v6
	v_med3_i32 v13, v13, 0, 13
	v_lshrrev_b32_e32 v14, v13, v10
	v_lshlrev_b32_e32 v13, v13, v14
	v_cmp_ne_u32_e32 vcc, v13, v10
	v_mul_f16_sdwa v3, v65, v3 dst_sel:DWORD dst_unused:UNUSED_PAD src0_sel:WORD_1 src1_sel:DWORD
	v_cndmask_b32_e64 v10, 0, 1, vcc
	v_fma_f16 v3, v65, v16, -v3
	v_or_b32_e32 v10, v14, v10
	v_add_u32_e32 v14, 0xfffffc10, v12
	v_cvt_f32_f16_e32 v3, v3
	v_lshl_or_b32 v12, v14, 12, v6
	v_cmp_gt_i32_e32 vcc, 1, v14
	v_cndmask_b32_e32 v10, v12, v10, vcc
	v_and_b32_e32 v12, 7, v10
	v_cmp_lt_i32_e32 vcc, 5, v12
	v_cmp_eq_u32_e64 s[2:3], 3, v12
	v_cvt_f64_f32_e32 v[12:13], v3
	v_lshrrev_b32_e32 v10, 2, v10
	s_or_b64 vcc, s[2:3], vcc
	v_addc_co_u32_e32 v3, vcc, 0, v10, vcc
	v_mul_f64 v[12:13], v[12:13], s[12:13]
	v_cmp_gt_i32_e32 vcc, 31, v14
	v_cndmask_b32_e32 v3, v2, v3, vcc
	v_cmp_ne_u32_e32 vcc, 0, v6
	v_cndmask_b32_e64 v6, 0, 1, vcc
	v_lshl_or_b32 v6, v6, 9, v2
	v_cmp_eq_u32_e32 vcc, s11, v14
	v_cndmask_b32_e32 v3, v3, v6, vcc
	v_lshrrev_b32_e32 v6, 16, v11
	v_and_or_b32 v3, v6, s14, v3
	v_and_or_b32 v6, v13, s15, v12
	v_cmp_ne_u32_e32 vcc, 0, v6
	v_cndmask_b32_e64 v6, 0, 1, vcc
	v_lshrrev_b32_e32 v10, 8, v13
	v_bfe_u32 v11, v13, 20, 11
	v_and_or_b32 v6, v10, s10, v6
	v_sub_u32_e32 v12, 0x3f1, v11
	v_or_b32_e32 v10, 0x1000, v6
	v_med3_i32 v12, v12, 0, 13
	v_lshrrev_b32_e32 v14, v12, v10
	v_lshlrev_b32_e32 v12, v12, v14
	v_cmp_ne_u32_e32 vcc, v12, v10
	v_cndmask_b32_e64 v10, 0, 1, vcc
	v_add_u32_e32 v12, 0xfffffc10, v11
	v_or_b32_e32 v10, v14, v10
	v_lshl_or_b32 v11, v12, 12, v6
	v_cmp_gt_i32_e32 vcc, 1, v12
	v_cndmask_b32_e32 v10, v11, v10, vcc
	v_and_b32_e32 v11, 7, v10
	v_cmp_lt_i32_e32 vcc, 5, v11
	v_cmp_eq_u32_e64 s[2:3], 3, v11
	v_lshrrev_b32_e32 v10, 2, v10
	s_or_b64 vcc, s[2:3], vcc
	v_addc_co_u32_e32 v10, vcc, 0, v10, vcc
	v_cmp_gt_i32_e32 vcc, 31, v12
	v_lshrrev_b32_e32 v15, 16, v7
	v_cndmask_b32_e32 v14, v2, v10, vcc
	v_mul_f16_sdwa v10, v64, v15 dst_sel:DWORD dst_unused:UNUSED_PAD src0_sel:WORD_1 src1_sel:DWORD
	v_fma_f16 v10, v64, v7, v10
	v_cvt_f32_f16_e32 v10, v10
	v_cmp_ne_u32_e32 vcc, 0, v6
	v_cndmask_b32_e64 v6, 0, 1, vcc
	v_lshl_or_b32 v6, v6, 9, v2
	v_cvt_f64_f32_e32 v[10:11], v10
	v_cmp_eq_u32_e32 vcc, s11, v12
	v_cndmask_b32_e32 v6, v14, v6, vcc
	v_lshrrev_b32_e32 v12, 16, v13
	v_mul_f64 v[10:11], v[10:11], s[12:13]
	v_and_or_b32 v6, v12, s14, v6
	v_and_b32_e32 v3, 0xffff, v3
	v_add_co_u32_e32 v8, vcc, s6, v8
	v_lshl_or_b32 v3, v6, 16, v3
	v_addc_co_u32_e32 v9, vcc, v9, v1, vcc
	global_store_dword v[8:9], v3, off
	v_and_or_b32 v3, v11, s15, v10
	v_cmp_ne_u32_e32 vcc, 0, v3
	v_cndmask_b32_e64 v3, 0, 1, vcc
	v_lshrrev_b32_e32 v6, 8, v11
	v_bfe_u32 v10, v11, 20, 11
	v_and_or_b32 v3, v6, s10, v3
	v_sub_u32_e32 v12, 0x3f1, v10
	v_or_b32_e32 v6, 0x1000, v3
	v_med3_i32 v12, v12, 0, 13
	v_lshrrev_b32_e32 v13, v12, v6
	v_lshlrev_b32_e32 v12, v12, v13
	v_mul_f16_sdwa v7, v64, v7 dst_sel:DWORD dst_unused:UNUSED_PAD src0_sel:WORD_1 src1_sel:DWORD
	v_cmp_ne_u32_e32 vcc, v12, v6
	v_fma_f16 v7, v64, v15, -v7
	v_cndmask_b32_e64 v6, 0, 1, vcc
	v_add_u32_e32 v10, 0xfffffc10, v10
	v_cvt_f32_f16_e32 v7, v7
	v_or_b32_e32 v6, v13, v6
	v_lshl_or_b32 v12, v10, 12, v3
	v_cmp_gt_i32_e32 vcc, 1, v10
	v_cndmask_b32_e32 v6, v12, v6, vcc
	v_and_b32_e32 v12, 7, v6
	v_cmp_lt_i32_e32 vcc, 5, v12
	v_cmp_eq_u32_e64 s[2:3], 3, v12
	v_lshrrev_b32_e32 v12, 2, v6
	v_cvt_f64_f32_e32 v[6:7], v7
	s_or_b64 vcc, s[2:3], vcc
	v_addc_co_u32_e32 v12, vcc, 0, v12, vcc
	v_mul_f64 v[6:7], v[6:7], s[12:13]
	v_cmp_gt_i32_e32 vcc, 31, v10
	v_cndmask_b32_e32 v12, v2, v12, vcc
	v_cmp_ne_u32_e32 vcc, 0, v3
	v_cndmask_b32_e64 v3, 0, 1, vcc
	v_lshl_or_b32 v3, v3, 9, v2
	v_cmp_eq_u32_e32 vcc, s11, v10
	v_cndmask_b32_e32 v3, v12, v3, vcc
	v_and_or_b32 v6, v7, s15, v6
	v_lshrrev_b32_e32 v10, 16, v11
	v_cmp_ne_u32_e32 vcc, 0, v6
	v_and_or_b32 v3, v10, s14, v3
	v_cndmask_b32_e64 v6, 0, 1, vcc
	v_lshrrev_b32_e32 v10, 8, v7
	v_bfe_u32 v11, v7, 20, 11
	v_and_or_b32 v6, v10, s10, v6
	v_sub_u32_e32 v12, 0x3f1, v11
	v_or_b32_e32 v10, 0x1000, v6
	v_med3_i32 v12, v12, 0, 13
	v_lshrrev_b32_e32 v13, v12, v10
	v_lshlrev_b32_e32 v12, v12, v13
	v_cmp_ne_u32_e32 vcc, v12, v10
	v_cndmask_b32_e64 v10, 0, 1, vcc
	v_add_u32_e32 v12, 0xfffffc10, v11
	v_or_b32_e32 v10, v13, v10
	v_lshl_or_b32 v11, v12, 12, v6
	v_cmp_gt_i32_e32 vcc, 1, v12
	v_cndmask_b32_e32 v10, v11, v10, vcc
	v_and_b32_e32 v11, 7, v10
	v_cmp_lt_i32_e32 vcc, 5, v11
	v_cmp_eq_u32_e64 s[2:3], 3, v11
	v_lshrrev_b32_e32 v10, 2, v10
	s_or_b64 vcc, s[2:3], vcc
	v_addc_co_u32_e32 v10, vcc, 0, v10, vcc
	v_cmp_gt_i32_e32 vcc, 31, v12
	v_lshrrev_b32_e32 v14, 16, v0
	v_cndmask_b32_e32 v13, v2, v10, vcc
	v_mul_f16_sdwa v10, v63, v14 dst_sel:DWORD dst_unused:UNUSED_PAD src0_sel:WORD_1 src1_sel:DWORD
	v_fma_f16 v10, v63, v0, v10
	v_cvt_f32_f16_e32 v10, v10
	v_cmp_ne_u32_e32 vcc, 0, v6
	v_cndmask_b32_e64 v6, 0, 1, vcc
	v_lshl_or_b32 v6, v6, 9, v2
	v_cvt_f64_f32_e32 v[10:11], v10
	v_cmp_eq_u32_e32 vcc, s11, v12
	v_cndmask_b32_e32 v6, v13, v6, vcc
	v_lshrrev_b32_e32 v7, 16, v7
	v_and_or_b32 v12, v7, s14, v6
	v_mul_f64 v[6:7], v[10:11], s[12:13]
	v_and_b32_e32 v3, 0xffff, v3
	v_add_co_u32_e32 v8, vcc, s6, v8
	v_lshl_or_b32 v3, v12, 16, v3
	v_addc_co_u32_e32 v9, vcc, v9, v1, vcc
	global_store_dword v[8:9], v3, off
	v_and_or_b32 v3, v7, s15, v6
	v_cmp_ne_u32_e32 vcc, 0, v3
	v_cndmask_b32_e64 v3, 0, 1, vcc
	v_lshrrev_b32_e32 v6, 8, v7
	v_bfe_u32 v10, v7, 20, 11
	v_and_or_b32 v3, v6, s10, v3
	v_sub_u32_e32 v11, 0x3f1, v10
	v_or_b32_e32 v6, 0x1000, v3
	v_med3_i32 v11, v11, 0, 13
	v_lshrrev_b32_e32 v12, v11, v6
	v_lshlrev_b32_e32 v11, v11, v12
	v_cmp_ne_u32_e32 vcc, v11, v6
	v_mul_f16_sdwa v0, v63, v0 dst_sel:DWORD dst_unused:UNUSED_PAD src0_sel:WORD_1 src1_sel:DWORD
	v_cndmask_b32_e64 v6, 0, 1, vcc
	v_fma_f16 v0, v63, v14, -v0
	v_or_b32_e32 v6, v12, v6
	v_add_u32_e32 v12, 0xfffffc10, v10
	v_cvt_f32_f16_e32 v0, v0
	v_lshl_or_b32 v10, v12, 12, v3
	v_cmp_gt_i32_e32 vcc, 1, v12
	v_cndmask_b32_e32 v6, v10, v6, vcc
	v_and_b32_e32 v10, 7, v6
	v_cmp_lt_i32_e32 vcc, 5, v10
	v_cmp_eq_u32_e64 s[2:3], 3, v10
	v_cvt_f64_f32_e32 v[10:11], v0
	v_lshrrev_b32_e32 v6, 2, v6
	s_or_b64 vcc, s[2:3], vcc
	v_addc_co_u32_e32 v0, vcc, 0, v6, vcc
	v_mul_f64 v[10:11], v[10:11], s[12:13]
	v_cmp_gt_i32_e32 vcc, 31, v12
	v_cndmask_b32_e32 v0, v2, v0, vcc
	v_cmp_ne_u32_e32 vcc, 0, v3
	v_cndmask_b32_e64 v3, 0, 1, vcc
	v_lshl_or_b32 v3, v3, 9, v2
	v_cmp_eq_u32_e32 vcc, s11, v12
	v_cndmask_b32_e32 v0, v0, v3, vcc
	v_lshrrev_b32_e32 v3, 16, v7
	v_and_or_b32 v0, v3, s14, v0
	v_and_or_b32 v3, v11, s15, v10
	v_cmp_ne_u32_e32 vcc, 0, v3
	v_cndmask_b32_e64 v3, 0, 1, vcc
	v_lshrrev_b32_e32 v6, 8, v11
	v_bfe_u32 v7, v11, 20, 11
	v_and_or_b32 v3, v6, s10, v3
	v_sub_u32_e32 v10, 0x3f1, v7
	v_or_b32_e32 v6, 0x1000, v3
	v_med3_i32 v10, v10, 0, 13
	v_lshrrev_b32_e32 v12, v10, v6
	v_lshlrev_b32_e32 v10, v10, v12
	v_cmp_ne_u32_e32 vcc, v10, v6
	v_cndmask_b32_e64 v6, 0, 1, vcc
	v_add_u32_e32 v10, 0xfffffc10, v7
	v_or_b32_e32 v6, v12, v6
	v_lshl_or_b32 v7, v10, 12, v3
	v_cmp_gt_i32_e32 vcc, 1, v10
	v_cndmask_b32_e32 v6, v7, v6, vcc
	v_and_b32_e32 v7, 7, v6
	v_cmp_lt_i32_e32 vcc, 5, v7
	v_cmp_eq_u32_e64 s[2:3], 3, v7
	v_lshrrev_b32_e32 v6, 2, v6
	s_or_b64 vcc, s[2:3], vcc
	v_addc_co_u32_e32 v6, vcc, 0, v6, vcc
	v_cmp_gt_i32_e32 vcc, 31, v10
	v_lshrrev_b32_e32 v13, 16, v4
	v_cndmask_b32_e32 v12, v2, v6, vcc
	v_mul_f16_sdwa v6, v62, v13 dst_sel:DWORD dst_unused:UNUSED_PAD src0_sel:WORD_1 src1_sel:DWORD
	v_fma_f16 v6, v62, v4, v6
	v_cvt_f32_f16_e32 v6, v6
	v_cmp_ne_u32_e32 vcc, 0, v3
	v_cndmask_b32_e64 v3, 0, 1, vcc
	v_lshl_or_b32 v3, v3, 9, v2
	v_cvt_f64_f32_e32 v[6:7], v6
	v_cmp_eq_u32_e32 vcc, s11, v10
	v_cndmask_b32_e32 v3, v12, v3, vcc
	v_lshrrev_b32_e32 v10, 16, v11
	v_mul_f64 v[6:7], v[6:7], s[12:13]
	v_and_or_b32 v3, v10, s14, v3
	v_and_b32_e32 v0, 0xffff, v0
	v_add_co_u32_e32 v8, vcc, s4, v8
	v_lshl_or_b32 v0, v3, 16, v0
	v_addc_co_u32_e32 v9, vcc, v9, v5, vcc
	global_store_dword v[8:9], v0, off
	v_and_or_b32 v0, v7, s15, v6
	v_cmp_ne_u32_e32 vcc, 0, v0
	v_cndmask_b32_e64 v0, 0, 1, vcc
	v_lshrrev_b32_e32 v3, 8, v7
	v_bfe_u32 v5, v7, 20, 11
	v_and_or_b32 v0, v3, s10, v0
	v_sub_u32_e32 v6, 0x3f1, v5
	v_or_b32_e32 v3, 0x1000, v0
	v_med3_i32 v6, v6, 0, 13
	v_lshrrev_b32_e32 v10, v6, v3
	v_lshlrev_b32_e32 v6, v6, v10
	v_mul_f16_sdwa v4, v62, v4 dst_sel:DWORD dst_unused:UNUSED_PAD src0_sel:WORD_1 src1_sel:DWORD
	v_cmp_ne_u32_e32 vcc, v6, v3
	v_fma_f16 v4, v62, v13, -v4
	v_cndmask_b32_e64 v3, 0, 1, vcc
	v_add_u32_e32 v5, 0xfffffc10, v5
	v_cvt_f32_f16_e32 v4, v4
	v_or_b32_e32 v3, v10, v3
	v_lshl_or_b32 v6, v5, 12, v0
	v_cmp_gt_i32_e32 vcc, 1, v5
	v_cndmask_b32_e32 v3, v6, v3, vcc
	v_and_b32_e32 v6, 7, v3
	v_cmp_lt_i32_e32 vcc, 5, v6
	v_cmp_eq_u32_e64 s[2:3], 3, v6
	v_lshrrev_b32_e32 v6, 2, v3
	v_cvt_f64_f32_e32 v[3:4], v4
	s_or_b64 vcc, s[2:3], vcc
	v_addc_co_u32_e32 v6, vcc, 0, v6, vcc
	v_mul_f64 v[3:4], v[3:4], s[12:13]
	v_cmp_gt_i32_e32 vcc, 31, v5
	v_cndmask_b32_e32 v6, v2, v6, vcc
	v_cmp_ne_u32_e32 vcc, 0, v0
	v_cndmask_b32_e64 v0, 0, 1, vcc
	v_lshl_or_b32 v0, v0, 9, v2
	v_cmp_eq_u32_e32 vcc, s11, v5
	v_cndmask_b32_e32 v0, v6, v0, vcc
	v_and_or_b32 v3, v4, s15, v3
	v_lshrrev_b32_e32 v5, 16, v7
	v_cmp_ne_u32_e32 vcc, 0, v3
	v_and_or_b32 v0, v5, s14, v0
	v_cndmask_b32_e64 v3, 0, 1, vcc
	v_lshrrev_b32_e32 v5, 8, v4
	v_bfe_u32 v6, v4, 20, 11
	v_and_or_b32 v3, v5, s10, v3
	v_sub_u32_e32 v7, 0x3f1, v6
	v_or_b32_e32 v5, 0x1000, v3
	v_med3_i32 v7, v7, 0, 13
	v_lshrrev_b32_e32 v10, v7, v5
	v_lshlrev_b32_e32 v7, v7, v10
	v_cmp_ne_u32_e32 vcc, v7, v5
	v_cndmask_b32_e64 v5, 0, 1, vcc
	v_add_u32_e32 v7, 0xfffffc10, v6
	v_or_b32_e32 v5, v10, v5
	v_lshl_or_b32 v6, v7, 12, v3
	v_cmp_gt_i32_e32 vcc, 1, v7
	v_cndmask_b32_e32 v5, v6, v5, vcc
	ds_read_b32 v10, v60 offset:3168
	v_and_b32_e32 v6, 7, v5
	v_cmp_lt_i32_e32 vcc, 5, v6
	v_cmp_eq_u32_e64 s[2:3], 3, v6
	v_lshrrev_b32_e32 v5, 2, v5
	s_or_b64 vcc, s[2:3], vcc
	v_addc_co_u32_e32 v5, vcc, 0, v5, vcc
	v_cmp_gt_i32_e32 vcc, 31, v7
	s_waitcnt lgkmcnt(0)
	v_lshrrev_b32_e32 v12, 16, v10
	v_cndmask_b32_e32 v11, v2, v5, vcc
	v_mul_f16_sdwa v5, v61, v12 dst_sel:DWORD dst_unused:UNUSED_PAD src0_sel:WORD_1 src1_sel:DWORD
	v_fma_f16 v5, v61, v10, v5
	v_cvt_f32_f16_e32 v5, v5
	v_cmp_ne_u32_e32 vcc, 0, v3
	v_cndmask_b32_e64 v3, 0, 1, vcc
	v_lshl_or_b32 v3, v3, 9, v2
	v_cvt_f64_f32_e32 v[5:6], v5
	v_cmp_eq_u32_e32 vcc, s11, v7
	v_cndmask_b32_e32 v3, v11, v3, vcc
	v_lshrrev_b32_e32 v4, 16, v4
	v_and_or_b32 v7, v4, s14, v3
	v_mul_f64 v[3:4], v[5:6], s[12:13]
	v_and_b32_e32 v0, 0xffff, v0
	v_add_co_u32_e32 v5, vcc, s6, v8
	v_lshl_or_b32 v0, v7, 16, v0
	v_addc_co_u32_e32 v6, vcc, v9, v1, vcc
	global_store_dword v[5:6], v0, off
	v_and_or_b32 v0, v4, s15, v3
	v_cmp_ne_u32_e32 vcc, 0, v0
	v_cndmask_b32_e64 v0, 0, 1, vcc
	v_lshrrev_b32_e32 v3, 8, v4
	v_bfe_u32 v7, v4, 20, 11
	v_and_or_b32 v0, v3, s10, v0
	v_sub_u32_e32 v8, 0x3f1, v7
	v_or_b32_e32 v3, 0x1000, v0
	v_med3_i32 v8, v8, 0, 13
	v_lshrrev_b32_e32 v9, v8, v3
	v_lshlrev_b32_e32 v8, v8, v9
	v_cmp_ne_u32_e32 vcc, v8, v3
	v_mul_f16_sdwa v8, v61, v10 dst_sel:DWORD dst_unused:UNUSED_PAD src0_sel:WORD_1 src1_sel:DWORD
	v_cndmask_b32_e64 v3, 0, 1, vcc
	v_fma_f16 v8, v61, v12, -v8
	v_or_b32_e32 v3, v9, v3
	v_add_u32_e32 v9, 0xfffffc10, v7
	v_cvt_f32_f16_e32 v8, v8
	v_lshl_or_b32 v7, v9, 12, v0
	v_cmp_gt_i32_e32 vcc, 1, v9
	v_cndmask_b32_e32 v3, v7, v3, vcc
	v_and_b32_e32 v7, 7, v3
	v_cmp_lt_i32_e32 vcc, 5, v7
	v_cmp_eq_u32_e64 s[2:3], 3, v7
	v_cvt_f64_f32_e32 v[7:8], v8
	v_lshrrev_b32_e32 v3, 2, v3
	s_or_b64 vcc, s[2:3], vcc
	v_addc_co_u32_e32 v3, vcc, 0, v3, vcc
	v_mul_f64 v[7:8], v[7:8], s[12:13]
	v_cmp_gt_i32_e32 vcc, 31, v9
	v_cndmask_b32_e32 v3, v2, v3, vcc
	v_cmp_ne_u32_e32 vcc, 0, v0
	v_cndmask_b32_e64 v0, 0, 1, vcc
	v_lshl_or_b32 v0, v0, 9, v2
	v_cmp_eq_u32_e32 vcc, s11, v9
	v_cndmask_b32_e32 v0, v3, v0, vcc
	v_lshrrev_b32_e32 v3, 16, v4
	v_and_or_b32 v0, v3, s14, v0
	v_and_or_b32 v3, v8, s15, v7
	v_cmp_ne_u32_e32 vcc, 0, v3
	v_cndmask_b32_e64 v3, 0, 1, vcc
	v_lshrrev_b32_e32 v4, 8, v8
	v_bfe_u32 v7, v8, 20, 11
	v_and_or_b32 v3, v4, s10, v3
	v_sub_u32_e32 v9, 0x3f1, v7
	v_or_b32_e32 v4, 0x1000, v3
	v_med3_i32 v9, v9, 0, 13
	v_lshrrev_b32_e32 v10, v9, v4
	v_lshlrev_b32_e32 v9, v9, v10
	v_cmp_ne_u32_e32 vcc, v9, v4
	v_cndmask_b32_e64 v4, 0, 1, vcc
	v_add_u32_e32 v7, 0xfffffc10, v7
	v_or_b32_e32 v4, v10, v4
	v_lshl_or_b32 v9, v7, 12, v3
	v_cmp_gt_i32_e32 vcc, 1, v7
	v_cndmask_b32_e32 v4, v9, v4, vcc
	v_and_b32_e32 v9, 7, v4
	v_cmp_lt_i32_e32 vcc, 5, v9
	v_cmp_eq_u32_e64 s[2:3], 3, v9
	v_lshrrev_b32_e32 v4, 2, v4
	s_or_b64 vcc, s[2:3], vcc
	v_addc_co_u32_e32 v4, vcc, 0, v4, vcc
	v_cmp_gt_i32_e32 vcc, 31, v7
	v_cndmask_b32_e32 v4, v2, v4, vcc
	v_cmp_ne_u32_e32 vcc, 0, v3
	v_cndmask_b32_e64 v3, 0, 1, vcc
	v_lshl_or_b32 v3, v3, 9, v2
	v_cmp_eq_u32_e32 vcc, s11, v7
	v_cndmask_b32_e32 v3, v4, v3, vcc
	v_lshrrev_b32_e32 v4, 16, v8
	v_and_or_b32 v3, v4, s14, v3
	v_and_b32_e32 v0, 0xffff, v0
	v_lshl_or_b32 v3, v3, 16, v0
	v_add_co_u32_e32 v0, vcc, s6, v5
	v_addc_co_u32_e32 v1, vcc, v6, v1, vcc
	global_store_dword v[0:1], v3, off
	s_and_b64 exec, exec, s[0:1]
	s_cbranch_execz .LBB0_31
; %bb.30:
	global_load_dword v3, v[27:28], off offset:1080
	ds_read_b32 v4, v60 offset:1080
	ds_read_b32 v7, v60 offset:2232
	;; [unrolled: 1-line block ×3, first 2 shown]
	v_mov_b32_e32 v9, s5
	v_add_co_u32_e32 v0, vcc, s4, v0
	s_waitcnt lgkmcnt(2)
	v_lshrrev_b32_e32 v5, 16, v4
	v_addc_co_u32_e32 v1, vcc, v1, v9, vcc
	s_waitcnt vmcnt(0)
	v_mul_f16_sdwa v6, v5, v3 dst_sel:DWORD dst_unused:UNUSED_PAD src0_sel:DWORD src1_sel:WORD_1
	v_fma_f16 v6, v4, v3, v6
	v_mul_f16_sdwa v4, v4, v3 dst_sel:DWORD dst_unused:UNUSED_PAD src0_sel:DWORD src1_sel:WORD_1
	v_cvt_f32_f16_e32 v6, v6
	v_fma_f16 v3, v3, v5, -v4
	v_cvt_f32_f16_e32 v5, v3
	v_cvt_f64_f32_e32 v[3:4], v6
	v_cvt_f64_f32_e32 v[5:6], v5
	v_mul_f64 v[3:4], v[3:4], s[12:13]
	v_mul_f64 v[5:6], v[5:6], s[12:13]
	v_and_or_b32 v3, v4, s15, v3
	v_cmp_ne_u32_e32 vcc, 0, v3
	v_and_or_b32 v5, v6, s15, v5
	v_lshrrev_b32_e32 v9, 8, v4
	v_bfe_u32 v10, v4, 20, 11
	v_cndmask_b32_e64 v3, 0, 1, vcc
	v_cmp_ne_u32_e32 vcc, 0, v5
	v_lshrrev_b32_e32 v11, 8, v6
	v_bfe_u32 v12, v6, 20, 11
	v_sub_u32_e32 v13, 0x3f1, v10
	v_cndmask_b32_e64 v5, 0, 1, vcc
	v_and_or_b32 v3, v9, s10, v3
	v_sub_u32_e32 v14, 0x3f1, v12
	v_med3_i32 v9, v13, 0, 13
	v_and_or_b32 v5, v11, s10, v5
	v_or_b32_e32 v13, 0x1000, v3
	v_add_u32_e32 v10, 0xfffffc10, v10
	v_med3_i32 v11, v14, 0, 13
	v_cmp_ne_u32_e32 vcc, 0, v3
	v_or_b32_e32 v15, 0x1000, v5
	v_lshrrev_b32_e32 v17, v9, v13
	v_add_u32_e32 v12, 0xfffffc10, v12
	v_lshl_or_b32 v14, v10, 12, v3
	v_cndmask_b32_e64 v3, 0, 1, vcc
	v_cmp_ne_u32_e32 vcc, 0, v5
	v_lshrrev_b32_e32 v18, v11, v15
	v_lshlrev_b32_e32 v9, v9, v17
	v_lshl_or_b32 v16, v12, 12, v5
	v_cndmask_b32_e64 v5, 0, 1, vcc
	v_lshlrev_b32_e32 v11, v11, v18
	v_cmp_ne_u32_e32 vcc, v9, v13
	v_cndmask_b32_e64 v9, 0, 1, vcc
	v_cmp_ne_u32_e32 vcc, v11, v15
	v_cndmask_b32_e64 v11, 0, 1, vcc
	v_or_b32_e32 v9, v17, v9
	v_cmp_gt_i32_e32 vcc, 1, v10
	v_cndmask_b32_e32 v9, v14, v9, vcc
	v_or_b32_e32 v11, v18, v11
	v_cmp_gt_i32_e32 vcc, 1, v12
	v_and_b32_e32 v13, 7, v9
	v_cndmask_b32_e32 v11, v16, v11, vcc
	v_cmp_lt_i32_e32 vcc, 5, v13
	v_cmp_eq_u32_e64 s[0:1], 3, v13
	v_lshrrev_b32_e32 v9, 2, v9
	v_and_b32_e32 v14, 7, v11
	s_or_b64 vcc, s[0:1], vcc
	v_cmp_lt_i32_e64 s[2:3], 5, v14
	v_cmp_eq_u32_e64 s[4:5], 3, v14
	v_addc_co_u32_e32 v9, vcc, 0, v9, vcc
	v_lshrrev_b32_e32 v11, 2, v11
	s_or_b64 vcc, s[4:5], s[2:3]
	v_addc_co_u32_e32 v11, vcc, 0, v11, vcc
	v_cmp_gt_i32_e32 vcc, 31, v10
	v_cndmask_b32_e32 v9, v2, v9, vcc
	v_cmp_gt_i32_e32 vcc, 31, v12
	v_lshl_or_b32 v3, v3, 9, v2
	v_cndmask_b32_e32 v11, v2, v11, vcc
	v_cmp_eq_u32_e32 vcc, s11, v10
	v_lshrrev_b32_e32 v4, 16, v4
	v_lshl_or_b32 v5, v5, 9, v2
	v_cndmask_b32_e32 v3, v9, v3, vcc
	v_cmp_eq_u32_e32 vcc, s11, v12
	v_lshrrev_b32_e32 v6, 16, v6
	v_cndmask_b32_e32 v5, v11, v5, vcc
	v_and_or_b32 v3, v4, s14, v3
	v_and_or_b32 v4, v6, s14, v5
	v_and_b32_e32 v3, 0xffff, v3
	v_lshl_or_b32 v3, v4, 16, v3
	global_store_dword v[0:1], v3, off
	global_load_dword v3, v[27:28], off offset:2232
	s_waitcnt lgkmcnt(1)
	v_lshrrev_b32_e32 v4, 16, v7
	v_add_co_u32_e32 v0, vcc, s6, v0
	s_waitcnt vmcnt(0)
	v_mul_f16_sdwa v5, v4, v3 dst_sel:DWORD dst_unused:UNUSED_PAD src0_sel:DWORD src1_sel:WORD_1
	v_fma_f16 v5, v7, v3, v5
	v_mul_f16_sdwa v6, v7, v3 dst_sel:DWORD dst_unused:UNUSED_PAD src0_sel:DWORD src1_sel:WORD_1
	v_cvt_f32_f16_e32 v5, v5
	v_fma_f16 v3, v3, v4, -v6
	v_cvt_f32_f16_e32 v6, v3
	v_mov_b32_e32 v7, s7
	v_cvt_f64_f32_e32 v[3:4], v5
	v_addc_co_u32_e32 v1, vcc, v1, v7, vcc
	v_cvt_f64_f32_e32 v[5:6], v6
	v_mul_f64 v[3:4], v[3:4], s[12:13]
	v_mul_f64 v[5:6], v[5:6], s[12:13]
	v_and_or_b32 v3, v4, s15, v3
	v_cmp_ne_u32_e32 vcc, 0, v3
	v_lshrrev_b32_e32 v9, 8, v4
	v_and_or_b32 v5, v6, s15, v5
	v_bfe_u32 v10, v4, 20, 11
	v_cndmask_b32_e64 v3, 0, 1, vcc
	v_cmp_ne_u32_e32 vcc, 0, v5
	v_lshrrev_b32_e32 v11, 8, v6
	v_bfe_u32 v12, v6, 20, 11
	v_sub_u32_e32 v13, 0x3f1, v10
	v_cndmask_b32_e64 v5, 0, 1, vcc
	v_and_or_b32 v3, v9, s10, v3
	v_sub_u32_e32 v14, 0x3f1, v12
	v_med3_i32 v9, v13, 0, 13
	v_and_or_b32 v5, v11, s10, v5
	v_or_b32_e32 v13, 0x1000, v3
	v_add_u32_e32 v10, 0xfffffc10, v10
	v_med3_i32 v11, v14, 0, 13
	v_cmp_ne_u32_e32 vcc, 0, v3
	v_or_b32_e32 v15, 0x1000, v5
	v_lshrrev_b32_e32 v17, v9, v13
	v_add_u32_e32 v12, 0xfffffc10, v12
	v_lshl_or_b32 v14, v10, 12, v3
	v_cndmask_b32_e64 v3, 0, 1, vcc
	v_cmp_ne_u32_e32 vcc, 0, v5
	v_lshrrev_b32_e32 v18, v11, v15
	v_lshlrev_b32_e32 v9, v9, v17
	v_lshl_or_b32 v16, v12, 12, v5
	v_cndmask_b32_e64 v5, 0, 1, vcc
	v_lshlrev_b32_e32 v11, v11, v18
	v_cmp_ne_u32_e32 vcc, v9, v13
	v_cndmask_b32_e64 v9, 0, 1, vcc
	v_cmp_ne_u32_e32 vcc, v11, v15
	v_cndmask_b32_e64 v11, 0, 1, vcc
	v_or_b32_e32 v9, v17, v9
	v_cmp_gt_i32_e32 vcc, 1, v10
	v_cndmask_b32_e32 v9, v14, v9, vcc
	v_or_b32_e32 v11, v18, v11
	v_cmp_gt_i32_e32 vcc, 1, v12
	v_and_b32_e32 v13, 7, v9
	v_cndmask_b32_e32 v11, v16, v11, vcc
	v_cmp_lt_i32_e32 vcc, 5, v13
	v_cmp_eq_u32_e64 s[0:1], 3, v13
	v_lshrrev_b32_e32 v9, 2, v9
	v_and_b32_e32 v14, 7, v11
	s_or_b64 vcc, s[0:1], vcc
	v_cmp_lt_i32_e64 s[2:3], 5, v14
	v_cmp_eq_u32_e64 s[4:5], 3, v14
	v_addc_co_u32_e32 v9, vcc, 0, v9, vcc
	v_lshrrev_b32_e32 v11, 2, v11
	s_or_b64 vcc, s[4:5], s[2:3]
	v_addc_co_u32_e32 v11, vcc, 0, v11, vcc
	v_cmp_gt_i32_e32 vcc, 31, v10
	v_cndmask_b32_e32 v9, v2, v9, vcc
	v_cmp_gt_i32_e32 vcc, 31, v12
	v_lshl_or_b32 v3, v3, 9, v2
	v_cndmask_b32_e32 v11, v2, v11, vcc
	v_cmp_eq_u32_e32 vcc, s11, v10
	v_lshrrev_b32_e32 v4, 16, v4
	v_lshl_or_b32 v5, v5, 9, v2
	v_cndmask_b32_e32 v3, v9, v3, vcc
	v_cmp_eq_u32_e32 vcc, s11, v12
	v_lshrrev_b32_e32 v6, 16, v6
	v_cndmask_b32_e32 v5, v11, v5, vcc
	v_and_or_b32 v3, v4, s14, v3
	v_and_or_b32 v4, v6, s14, v5
	v_and_b32_e32 v3, 0xffff, v3
	v_lshl_or_b32 v3, v4, 16, v3
	global_store_dword v[0:1], v3, off
	global_load_dword v3, v[27:28], off offset:3384
	s_waitcnt lgkmcnt(0)
	v_lshrrev_b32_e32 v4, 16, v8
	s_waitcnt vmcnt(0)
	v_mul_f16_sdwa v5, v4, v3 dst_sel:DWORD dst_unused:UNUSED_PAD src0_sel:DWORD src1_sel:WORD_1
	v_fma_f16 v5, v8, v3, v5
	v_mul_f16_sdwa v6, v8, v3 dst_sel:DWORD dst_unused:UNUSED_PAD src0_sel:DWORD src1_sel:WORD_1
	v_cvt_f32_f16_e32 v5, v5
	v_fma_f16 v3, v3, v4, -v6
	v_cvt_f32_f16_e32 v6, v3
	v_cvt_f64_f32_e32 v[3:4], v5
	v_cvt_f64_f32_e32 v[5:6], v6
	v_mul_f64 v[3:4], v[3:4], s[12:13]
	v_mul_f64 v[5:6], v[5:6], s[12:13]
	v_and_or_b32 v3, v4, s15, v3
	v_cmp_ne_u32_e32 vcc, 0, v3
	v_and_or_b32 v5, v6, s15, v5
	v_lshrrev_b32_e32 v8, 8, v4
	v_bfe_u32 v9, v4, 20, 11
	v_cndmask_b32_e64 v3, 0, 1, vcc
	v_cmp_ne_u32_e32 vcc, 0, v5
	v_lshrrev_b32_e32 v10, 8, v6
	v_bfe_u32 v11, v6, 20, 11
	v_sub_u32_e32 v12, 0x3f1, v9
	v_cndmask_b32_e64 v5, 0, 1, vcc
	v_and_or_b32 v3, v8, s10, v3
	v_sub_u32_e32 v13, 0x3f1, v11
	v_med3_i32 v8, v12, 0, 13
	v_and_or_b32 v5, v10, s10, v5
	v_or_b32_e32 v12, 0x1000, v3
	v_add_u32_e32 v9, 0xfffffc10, v9
	v_med3_i32 v10, v13, 0, 13
	v_cmp_ne_u32_e32 vcc, 0, v3
	v_or_b32_e32 v14, 0x1000, v5
	v_lshrrev_b32_e32 v16, v8, v12
	v_add_u32_e32 v11, 0xfffffc10, v11
	v_lshl_or_b32 v13, v9, 12, v3
	v_cndmask_b32_e64 v3, 0, 1, vcc
	v_cmp_ne_u32_e32 vcc, 0, v5
	v_lshrrev_b32_e32 v17, v10, v14
	v_lshlrev_b32_e32 v8, v8, v16
	v_lshl_or_b32 v15, v11, 12, v5
	v_cndmask_b32_e64 v5, 0, 1, vcc
	v_lshlrev_b32_e32 v10, v10, v17
	v_cmp_ne_u32_e32 vcc, v8, v12
	v_cndmask_b32_e64 v8, 0, 1, vcc
	v_cmp_ne_u32_e32 vcc, v10, v14
	v_cndmask_b32_e64 v10, 0, 1, vcc
	v_or_b32_e32 v8, v16, v8
	v_cmp_gt_i32_e32 vcc, 1, v9
	v_cndmask_b32_e32 v8, v13, v8, vcc
	v_or_b32_e32 v10, v17, v10
	v_cmp_gt_i32_e32 vcc, 1, v11
	v_and_b32_e32 v12, 7, v8
	v_cndmask_b32_e32 v10, v15, v10, vcc
	v_cmp_lt_i32_e32 vcc, 5, v12
	v_cmp_eq_u32_e64 s[0:1], 3, v12
	v_lshrrev_b32_e32 v8, 2, v8
	v_and_b32_e32 v13, 7, v10
	s_or_b64 vcc, s[0:1], vcc
	v_cmp_lt_i32_e64 s[2:3], 5, v13
	v_cmp_eq_u32_e64 s[4:5], 3, v13
	v_addc_co_u32_e32 v8, vcc, 0, v8, vcc
	v_lshrrev_b32_e32 v10, 2, v10
	s_or_b64 vcc, s[4:5], s[2:3]
	v_addc_co_u32_e32 v10, vcc, 0, v10, vcc
	v_cmp_gt_i32_e32 vcc, 31, v9
	v_cndmask_b32_e32 v8, v2, v8, vcc
	v_cmp_gt_i32_e32 vcc, 31, v11
	v_lshl_or_b32 v3, v3, 9, v2
	v_lshl_or_b32 v5, v5, 9, v2
	v_cndmask_b32_e32 v2, v2, v10, vcc
	v_cmp_eq_u32_e32 vcc, s11, v9
	v_lshrrev_b32_e32 v4, 16, v4
	v_cndmask_b32_e32 v3, v8, v3, vcc
	v_cmp_eq_u32_e32 vcc, s11, v11
	v_lshrrev_b32_e32 v6, 16, v6
	v_cndmask_b32_e32 v2, v2, v5, vcc
	v_and_or_b32 v3, v4, s14, v3
	v_and_or_b32 v2, v6, s14, v2
	v_and_b32_e32 v3, 0xffff, v3
	v_add_co_u32_e32 v0, vcc, s6, v0
	v_lshl_or_b32 v2, v2, 16, v3
	v_addc_co_u32_e32 v1, vcc, v1, v7, vcc
	global_store_dword v[0:1], v2, off
.LBB0_31:
	s_endpgm
	.section	.rodata,"a",@progbits
	.p2align	6, 0x0
	.amdhsa_kernel bluestein_single_fwd_len864_dim1_half_op_CI_CI
		.amdhsa_group_segment_fixed_size 3456
		.amdhsa_private_segment_fixed_size 0
		.amdhsa_kernarg_size 104
		.amdhsa_user_sgpr_count 6
		.amdhsa_user_sgpr_private_segment_buffer 1
		.amdhsa_user_sgpr_dispatch_ptr 0
		.amdhsa_user_sgpr_queue_ptr 0
		.amdhsa_user_sgpr_kernarg_segment_ptr 1
		.amdhsa_user_sgpr_dispatch_id 0
		.amdhsa_user_sgpr_flat_scratch_init 0
		.amdhsa_user_sgpr_private_segment_size 0
		.amdhsa_uses_dynamic_stack 0
		.amdhsa_system_sgpr_private_segment_wavefront_offset 0
		.amdhsa_system_sgpr_workgroup_id_x 1
		.amdhsa_system_sgpr_workgroup_id_y 0
		.amdhsa_system_sgpr_workgroup_id_z 0
		.amdhsa_system_sgpr_workgroup_info 0
		.amdhsa_system_vgpr_workitem_id 0
		.amdhsa_next_free_vgpr 127
		.amdhsa_next_free_sgpr 18
		.amdhsa_reserve_vcc 1
		.amdhsa_reserve_flat_scratch 0
		.amdhsa_float_round_mode_32 0
		.amdhsa_float_round_mode_16_64 0
		.amdhsa_float_denorm_mode_32 3
		.amdhsa_float_denorm_mode_16_64 3
		.amdhsa_dx10_clamp 1
		.amdhsa_ieee_mode 1
		.amdhsa_fp16_overflow 0
		.amdhsa_exception_fp_ieee_invalid_op 0
		.amdhsa_exception_fp_denorm_src 0
		.amdhsa_exception_fp_ieee_div_zero 0
		.amdhsa_exception_fp_ieee_overflow 0
		.amdhsa_exception_fp_ieee_underflow 0
		.amdhsa_exception_fp_ieee_inexact 0
		.amdhsa_exception_int_div_zero 0
	.end_amdhsa_kernel
	.text
.Lfunc_end0:
	.size	bluestein_single_fwd_len864_dim1_half_op_CI_CI, .Lfunc_end0-bluestein_single_fwd_len864_dim1_half_op_CI_CI
                                        ; -- End function
	.section	.AMDGPU.csdata,"",@progbits
; Kernel info:
; codeLenInByte = 24332
; NumSgprs: 22
; NumVgprs: 127
; ScratchSize: 0
; MemoryBound: 0
; FloatMode: 240
; IeeeMode: 1
; LDSByteSize: 3456 bytes/workgroup (compile time only)
; SGPRBlocks: 2
; VGPRBlocks: 31
; NumSGPRsForWavesPerEU: 22
; NumVGPRsForWavesPerEU: 127
; Occupancy: 2
; WaveLimiterHint : 1
; COMPUTE_PGM_RSRC2:SCRATCH_EN: 0
; COMPUTE_PGM_RSRC2:USER_SGPR: 6
; COMPUTE_PGM_RSRC2:TRAP_HANDLER: 0
; COMPUTE_PGM_RSRC2:TGID_X_EN: 1
; COMPUTE_PGM_RSRC2:TGID_Y_EN: 0
; COMPUTE_PGM_RSRC2:TGID_Z_EN: 0
; COMPUTE_PGM_RSRC2:TIDIG_COMP_CNT: 0
	.type	__hip_cuid_29f4291744d84230,@object ; @__hip_cuid_29f4291744d84230
	.section	.bss,"aw",@nobits
	.globl	__hip_cuid_29f4291744d84230
__hip_cuid_29f4291744d84230:
	.byte	0                               ; 0x0
	.size	__hip_cuid_29f4291744d84230, 1

	.ident	"AMD clang version 19.0.0git (https://github.com/RadeonOpenCompute/llvm-project roc-6.4.0 25133 c7fe45cf4b819c5991fe208aaa96edf142730f1d)"
	.section	".note.GNU-stack","",@progbits
	.addrsig
	.addrsig_sym __hip_cuid_29f4291744d84230
	.amdgpu_metadata
---
amdhsa.kernels:
  - .args:
      - .actual_access:  read_only
        .address_space:  global
        .offset:         0
        .size:           8
        .value_kind:     global_buffer
      - .actual_access:  read_only
        .address_space:  global
        .offset:         8
        .size:           8
        .value_kind:     global_buffer
      - .actual_access:  read_only
        .address_space:  global
        .offset:         16
        .size:           8
        .value_kind:     global_buffer
      - .actual_access:  read_only
        .address_space:  global
        .offset:         24
        .size:           8
        .value_kind:     global_buffer
      - .actual_access:  read_only
        .address_space:  global
        .offset:         32
        .size:           8
        .value_kind:     global_buffer
      - .offset:         40
        .size:           8
        .value_kind:     by_value
      - .address_space:  global
        .offset:         48
        .size:           8
        .value_kind:     global_buffer
      - .address_space:  global
        .offset:         56
        .size:           8
        .value_kind:     global_buffer
      - .address_space:  global
        .offset:         64
        .size:           8
        .value_kind:     global_buffer
      - .address_space:  global
        .offset:         72
        .size:           8
        .value_kind:     global_buffer
      - .offset:         80
        .size:           4
        .value_kind:     by_value
      - .address_space:  global
        .offset:         88
        .size:           8
        .value_kind:     global_buffer
      - .address_space:  global
        .offset:         96
        .size:           8
        .value_kind:     global_buffer
    .group_segment_fixed_size: 3456
    .kernarg_segment_align: 8
    .kernarg_segment_size: 104
    .language:       OpenCL C
    .language_version:
      - 2
      - 0
    .max_flat_workgroup_size: 54
    .name:           bluestein_single_fwd_len864_dim1_half_op_CI_CI
    .private_segment_fixed_size: 0
    .sgpr_count:     22
    .sgpr_spill_count: 0
    .symbol:         bluestein_single_fwd_len864_dim1_half_op_CI_CI.kd
    .uniform_work_group_size: 1
    .uses_dynamic_stack: false
    .vgpr_count:     127
    .vgpr_spill_count: 0
    .wavefront_size: 64
amdhsa.target:   amdgcn-amd-amdhsa--gfx906
amdhsa.version:
  - 1
  - 2
...

	.end_amdgpu_metadata
